;; amdgpu-corpus repo=ROCm/aiter kind=harvested arch=n/a opt=n/a

/root/src/amdgpu-assembly/repos/ROCm__aiter/hsa/gfx942/pa/pa_bf16_pertokenInt8_gqa16_1tg_4w_mtp_msk1.co:	file format elf64-amdgpu

Disassembly of section .text:

0000000000002200 <_ZN5aiter42pa_bf16_pertokenInt8_gqa16_1tg_4w_mtp_msk1E>:
	s_and_b32 s1, s1, 0xffff                                   // 000000002200: 8601FF01 0000FFFF
	s_load_dwordx2 s[8:9], s[0:1], 0x0                         // 000000002208: C0060200 00000000
	s_load_dwordx2 s[12:13], s[0:1], 0x10                      // 000000002210: C0060300 00000010
	s_load_dwordx2 s[16:17], s[0:1], 0x20                      // 000000002218: C0060400 00000020
	s_load_dwordx2 s[20:21], s[0:1], 0x30                      // 000000002220: C0060500 00000030
	s_load_dwordx2 s[24:25], s[0:1], 0x40                      // 000000002228: C0060600 00000040
	s_load_dwordx2 s[28:29], s[0:1], 0x50                      // 000000002230: C0060700 00000050
	s_load_dwordx2 s[32:33], s[0:1], 0x60                      // 000000002238: C0060800 00000060
	s_load_dwordx2 s[36:37], s[0:1], 0x70                      // 000000002240: C0060900 00000070
	s_load_dword s64, s[0:1], 0x80                             // 000000002248: C0021000 00000080
	s_load_dword s65, s[0:1], 0x90                             // 000000002250: C0021040 00000090
	s_load_dword s66, s[0:1], 0xa0                             // 000000002258: C0021080 000000A0
	s_load_dword s74, s[0:1], 0xb0                             // 000000002260: C0021280 000000B0
	s_load_dword s68, s[0:1], 0xc0                             // 000000002268: C0021100 000000C0
	s_load_dword s69, s[0:1], 0xd0                             // 000000002270: C0021140 000000D0
	s_load_dword s77, s[0:1], 0xe0                             // 000000002278: C0021340 000000E0
	s_load_dwordx2 s[80:81], s[0:1], 0xf0                      // 000000002280: C0061400 000000F0
	v_lshrrev_b32_e32 v1, 10, v0                               // 000000002288: 2002008A
	v_lshrrev_b32_e32 v2, 10, v1                               // 00000000228C: 2004028A
	v_and_b32_e32 v2, 0x3ff, v2                                // 000000002290: 260404FF 000003FF
	v_and_b32_e32 v1, 0x3ff, v1                                // 000000002298: 260202FF 000003FF
	v_and_b32_e32 v0, 0x3ff, v0                                // 0000000022A0: 260000FF 000003FF
	v_lshrrev_b32_e32 v3, 6, v0                                // 0000000022A8: 20060086
	v_and_b32_e32 v0, 63, v0                                   // 0000000022AC: 260000BF
	s_mov_b32 s2, s2                                           // 0000000022B0: BE820002
	s_mov_b32 s3, s3                                           // 0000000022B4: BE830003
	s_mov_b32 s4, s4                                           // 0000000022B8: BE840004
	v_readfirstlane_b32 s7, v3                                 // 0000000022BC: 7E0E0503
	s_waitcnt lgkmcnt(0)                                       // 0000000022C0: BF8CC07F
	s_mul_i32 s67, 0x100, s77                                  // 0000000022C4: 92434DFF 00000100
	s_mul_i32 s76, 0x100, s77                                  // 0000000022CC: 924C4DFF 00000100
	s_mul_i32 s75, s66, s76                                    // 0000000022D4: 924B4C42
	s_mul_i32 s60, s3, 4                                       // 0000000022D8: 923C8403
	s_and_b32 s29, s29, 0xffff                                 // 0000000022DC: 861DFF1D 0000FFFF
	s_add_u32 s28, s60, s28                                    // 0000000022E4: 801C1C3C
	s_addc_u32 s29, 0, s29                                     // 0000000022E8: 821D1D80
	s_load_dword s72, s[28:29], 0x0                            // 0000000022EC: C002120E 00000000
	s_mul_i32 s60, s3, 4                                       // 0000000022F4: 923C8403
	s_and_b32 s81, s81, 0xffff                                 // 0000000022F8: 8651FF51 0000FFFF
	s_add_u32 s80, s60, s80                                    // 000000002300: 8050503C
	s_addc_u32 s81, 0, s81                                     // 000000002304: 82515180
	s_load_dword s84, s[80:81], 0x0                            // 000000002308: C0021528 00000000
	s_load_dword s85, s[80:81], 0x4                            // 000000002310: C0021568 00000004
	s_mov_b32 s10, s76                                         // 000000002318: BE8A004C
	s_mov_b32 s14, s67                                         // 00000000231C: BE8E0043
	s_mul_i32 s60, 4, s65                                      // 000000002320: 923C4184
	s_mov_b32 s26, s60                                         // 000000002324: BE9A003C
	s_mov_b32 s34, 0x80000000                                  // 000000002328: BEA200FF 80000000
	s_mov_b32 s38, 0x80000000                                  // 000000002330: BEA600FF 80000000
	s_mov_b32 s18, 0x80000000                                  // 000000002338: BE9200FF 80000000
	s_mov_b32 s22, 0x80000000                                  // 000000002340: BE9600FF 80000000
	s_mov_b32 s11, 0x20000                                     // 000000002348: BE8B00FF 00020000
	s_mov_b32 s15, 0x20000                                     // 000000002350: BE8F00FF 00020000
	s_mov_b32 s19, 0x20000                                     // 000000002358: BE9300FF 00020000
	s_mov_b32 s23, 0x20000                                     // 000000002360: BE9700FF 00020000
	s_mov_b32 s27, 0x20000                                     // 000000002368: BE9B00FF 00020000
	s_mov_b32 s35, 0x20000                                     // 000000002370: BEA300FF 00020000
	s_mov_b32 s39, 0x20000                                     // 000000002378: BEA700FF 00020000
	s_and_b32 s9, s9, 0xffff                                   // 000000002380: 8609FF09 0000FFFF
	s_and_b32 s13, s13, 0xffff                                 // 000000002388: 860DFF0D 0000FFFF
	s_and_b32 s17, s17, 0xffff                                 // 000000002390: 8611FF11 0000FFFF
	s_and_b32 s21, s21, 0xffff                                 // 000000002398: 8615FF15 0000FFFF
	s_and_b32 s25, s25, 0xffff                                 // 0000000023A0: 8619FF19 0000FFFF
	s_and_b32 s33, s33, 0xffff                                 // 0000000023A8: 8621FF21 0000FFFF
	s_and_b32 s37, s37, 0xffff                                 // 0000000023B0: 8625FF25 0000FFFF
	s_or_b32 s9, s9, 0x40000                                   // 0000000023B8: 8709FF09 00040000
	s_or_b32 s13, s13, 0x40000                                 // 0000000023C0: 870DFF0D 00040000
	s_or_b32 s17, s17, 0x40000                                 // 0000000023C8: 8711FF11 00040000
	s_or_b32 s21, s21, 0x40000                                 // 0000000023D0: 8715FF15 00040000
	s_or_b32 s25, s25, 0x40000                                 // 0000000023D8: 8719FF19 00040000
	s_or_b32 s33, s33, 0x40000                                 // 0000000023E0: 8721FF21 00040000
	s_or_b32 s37, s37, 0x40000                                 // 0000000023E8: 8725FF25 00040000
	v_accvgpr_write_b32 a127, 0                                // 0000000023F0: D3D9407F 18000080
	v_mov_b32_e32 v255, 0                                      // 0000000023F8: 7FFE0280
	s_waitcnt lgkmcnt(0)                                       // 0000000023FC: BF8CC07F
	s_sub_u32 s86, s85, s84                                    // 000000002400: 80D65455
	s_mov_b32 s60, 2                                           // 000000002404: BEBC0082
	s_cmp_eq_i32 s60, s86                                      // 000000002408: BF00563C
	s_cbranch_scc1 label_14F5                                  // 00000000240C: BF851471
	s_mov_b32 s60, 3                                           // 000000002410: BEBC0083
	s_cmp_eq_i32 s60, s86                                      // 000000002414: BF00563C
	s_cbranch_scc1 label_3B27                                  // 000000002418: BF853AA0
	s_mov_b32 s60, 4                                           // 00000000241C: BEBC0084
	s_cmp_eq_i32 s60, s86                                      // 000000002420: BF00563C
	s_cbranch_scc1 label_7349                                  // 000000002424: BF8572BF
	s_mul_i32 s60, s3, s65                                     // 000000002428: 923C4103
	s_mul_i32 s60, s60, 4                                      // 00000000242C: 923C843C
	s_add_u32 s24, s60, s24                                    // 000000002430: 8018183C
	s_addc_u32 s25, 0, s25                                     // 000000002434: 82191980
	s_mov_b32 s56, 64                                          // 000000002438: BEB800C0
	s_add_u32 s73, s72, 15                                     // 00000000243C: 80498F48
	s_lshr_b32 s73, s73, 4                                     // 000000002440: 8F498449
	s_mul_i32 s60, s73, 4                                      // 000000002444: 923C8449
	s_mov_b32 s26, s60                                         // 000000002448: BE9A003C
	v_and_b32_e32 v65, 3, v0                                   // 00000000244C: 26820083
	v_cmp_eq_u32_e64 s[60:61], 0, v65                          // 000000002450: D0CA003C 00028280
	v_and_b32_e32 v64, 12, v0                                  // 000000002458: 2680008C
	v_add_u32_e32 v1, s7, v64                                  // 00000000245C: 68028007
	v_cndmask_b32_e64 v1, 0, v1, s[60:61]                      // 000000002460: D1000001 00F20280
	v_and_b32_e32 v65, 3, v0                                   // 000000002468: 26820083
	v_cmp_eq_u32_e64 s[60:61], 1, v65                          // 00000000246C: D0CA003C 00028281
	v_lshrrev_b32_e32 v64, 4, v0                               // 000000002474: 20800084
	v_and_b32_e32 v65, 12, v0                                  // 000000002478: 2682008C
	v_add_u32_e32 v64, v65, v64                                // 00000000247C: 68808141
	v_cndmask_b32_e64 v64, 0, v64, s[60:61]                    // 000000002480: D1000040 00F28080
	v_add_u32_e32 v1, v1, v64                                  // 000000002488: 68028101
	v_lshlrev_b32_e32 v1, 2, v1                                // 00000000248C: 24020282
	buffer_load_dword v16, v1, s[24:27], 0 offen               // 000000002490: E0501000 80061001
	v_add_u32_e32 v1, s56, v1                                  // 000000002498: 68020238
	buffer_load_dword v17, v1, s[24:27], 0 offen               // 00000000249C: E0501000 80061101
	s_cmp_le_u32 s73, 32                                       // 0000000024A4: BF0BA049
	s_cselect_b32 s56, 0, s56                                  // 0000000024A8: 85383880
	s_mul_i32 s60, s2, s67                                     // 0000000024AC: 923C4302
	s_mul_i32 s61, s84, s74                                    // 0000000024B0: 923D4A54
	s_add_u32 s60, s60, s61                                    // 0000000024B4: 803C3D3C
	s_add_u32 s12, s60, s12                                    // 0000000024B8: 800C0C3C
	s_addc_u32 s13, 0, s13                                     // 0000000024BC: 820D0D80
	s_mul_i32 s60, s7, 0x108                                   // 0000000024C0: 923CFF07 00000108
	s_add_u32 m0, 0, s60                                       // 0000000024C8: 807C3C80
	s_mul_i32 s60, s7, 0x100                                   // 0000000024CC: 923CFF07 00000100
	v_lshlrev_b32_e32 v64, 2, v0                               // 0000000024D4: 24800082
	v_add_u32_e64 v64, v64, s60                                // 0000000024D8: D1340040 00007940
	buffer_load_dword v64, s[12:15], 0 offen lds               // 0000000024E0: E0511000 80030040
	s_mul_i32 s60, 4, 0x108                                    // 0000000024E8: 923CFF84 00000108
	s_add_u32 m0, m0, s60                                      // 0000000024F0: 807C3C7C
	v_add_u32_e32 v64, 0x400, v64                              // 0000000024F4: 688080FF 00000400
	buffer_load_dword v64, s[12:15], 0 offen lds               // 0000000024FC: E0511000 80030040
	s_mul_i32 s60, 4, 0x108                                    // 000000002504: 923CFF84 00000108
	s_add_u32 m0, m0, s60                                      // 00000000250C: 807C3C7C
	v_add_u32_e32 v64, 0x400, v64                              // 000000002510: 688080FF 00000400
	buffer_load_dword v64, s[12:15], 0 offen lds               // 000000002518: E0511000 80030040
	s_mul_i32 s60, 4, 0x108                                    // 000000002520: 923CFF84 00000108
	s_add_u32 m0, m0, s60                                      // 000000002528: 807C3C7C
	v_add_u32_e32 v64, 0x400, v64                              // 00000000252C: 688080FF 00000400
	buffer_load_dword v64, s[12:15], 0 offen lds               // 000000002534: E0511000 80030040
	s_mul_i32 s60, 4, 0x108                                    // 00000000253C: 923CFF84 00000108
	s_add_u32 m0, m0, s60                                      // 000000002544: 807C3C7C
	v_add_u32_e32 v64, 0x400, v64                              // 000000002548: 688080FF 00000400
	v_lshrrev_b32_e32 v64, 4, v0                               // 000000002550: 20800084
	v_lshlrev_b32_e32 v64, 2, v64                              // 000000002554: 24808082
	v_and_b32_e32 v65, 3, v0                                   // 000000002558: 26820083
	v_add_u32_e32 v64, v65, v64                                // 00000000255C: 68808141
	v_lshlrev_b32_e32 v59, 2, v64                              // 000000002560: 24768082
	v_mov_b32_e32 v60, v59                                     // 000000002564: 7E78033B
	s_mul_i32 s60, s2, 64                                      // 000000002568: 923CC002
	s_add_u32 s32, s60, s32                                    // 00000000256C: 8020203C
	s_addc_u32 s33, 0, s33                                     // 000000002570: 82212180
	s_add_u32 s36, s60, s36                                    // 000000002574: 8024243C
	s_addc_u32 s37, 0, s37                                     // 000000002578: 82252580
	s_mul_i32 s60, s2, s76                                     // 00000000257C: 923C4C02
	s_mul_i32 s61, s84, s75                                    // 000000002580: 923D4B54
	s_add_u32 s60, s60, s61                                    // 000000002584: 803C3D3C
	s_add_u32 s8, s60, s8                                      // 000000002588: 8008083C
	s_addc_u32 s9, 0, s9                                       // 00000000258C: 82090980
	s_mov_b32 s70, 0                                           // 000000002590: BEC60080
	s_and_b32 s71, s72, 0xffffff00                             // 000000002594: 8647FF48 FFFFFF00
	s_mov_b32 s42, 0xff00ff00                                  // 00000000259C: BEAA00FF FF00FF00
	s_mov_b32 s43, 0xff00ff00                                  // 0000000025A4: BEAB00FF FF00FF00
	s_mov_b32 s44, 0xf0f0f0f0                                  // 0000000025AC: BEAC00FF F0F0F0F0
	s_mov_b32 s45, 0xf0f0f0f0                                  // 0000000025B4: BEAD00FF F0F0F0F0
	s_mov_b32 s78, 0xff00ff                                    // 0000000025BC: BECE00FF 00FF00FF
	s_mov_b32 s79, 0xff00ff                                    // 0000000025C4: BECF00FF 00FF00FF
	v_mul_i32_i24_e64 v63, 64, s66                             // 0000000025CC: D106003F 000084C0
	v_mov_b32_e32 v54, s68                                     // 0000000025D4: 7E6C0244
	s_mov_b32 s52, 0x7060302                                   // 0000000025D8: BEB400FF 07060302
	s_mov_b32 s53, 0x400                                       // 0000000025E0: BEB500FF 00000400
	s_mov_b32 s54, 0x40100                                     // 0000000025E8: BEB600FF 00040100
	s_mov_b32 s55, 0x4020100                                   // 0000000025F0: BEB700FF 04020100
	s_mov_b32 s6, 0x3fb8aa3b                                   // 0000000025F8: BE8600FF 3FB8AA3B
	v_mov_b32_e32 v11, 0xff800000                              // 000000002600: 7E1602FF FF800000
	v_mov_b32_e32 v49, 0                                       // 000000002608: 7E620280
	v_mov_b32_e32 v38, 0                                       // 00000000260C: 7E4C0280
	v_mov_b32_e32 v44, 0                                       // 000000002610: 7E580280
	v_add_u32_e32 v1, s56, v1                                  // 000000002614: 68020238
	v_and_b32_e32 v7, 15, v0                                   // 000000002618: 260E008F
	v_lshlrev_b32_e32 v7, 2, v7                                // 00000000261C: 240E0E82
	v_lshlrev_b32_e32 v8, 2, v0                                // 000000002620: 24100082
	s_mul_i32 s60, 0x100, s7                                   // 000000002624: 923C07FF 00000100
	v_add_u32_e32 v8, s60, v8                                  // 00000000262C: 6810103C
	v_lshrrev_b32_e32 v64, 4, v0                               // 000000002630: 20800084
	v_lshlrev_b32_e32 v65, 6, v64                              // 000000002634: 24828086
	v_and_b32_e32 v64, 15, v0                                  // 000000002638: 2680008F
	v_lshlrev_b32_e32 v64, 1, v64                              // 00000000263C: 24808081
	v_add_u32_e32 v65, v64, v65                                // 000000002640: 68828340
	v_lshlrev_b32_e32 v9, 2, v65                               // 000000002644: 24128282
	v_lshrrev_b32_e32 v64, 5, v0                               // 000000002648: 20800085
	v_lshlrev_b32_e32 v65, 5, v64                              // 00000000264C: 24828085
	v_and_b32_e32 v64, 31, v0                                  // 000000002650: 2680009F
	v_lshrrev_b32_e32 v66, 4, v64                              // 000000002654: 20848084
	v_add_u32_e32 v65, v66, v65                                // 000000002658: 68828342
	v_and_b32_e32 v64, 15, v0                                  // 00000000265C: 2680008F
	v_lshlrev_b32_e32 v64, 1, v64                              // 000000002660: 24808081
	v_add_u32_e32 v65, v64, v65                                // 000000002664: 68828340
	v_lshlrev_b32_e32 v64, 2, v65                              // 000000002668: 24808282
	s_mul_i32 s60, 0x100, s7                                   // 00000000266C: 923C07FF 00000100
	v_add_u32_e64 v10, v64, s60                                // 000000002674: D134000A 00007940
	v_lshlrev_b32_e32 v5, 4, v0                                // 00000000267C: 240A0084
	s_mul_i32 s60, s2, s69                                     // 000000002680: 923C4502
	s_add_u32 s16, s60, s16                                    // 000000002684: 8010103C
	s_addc_u32 s17, 0, s17                                     // 000000002688: 82111180
	v_and_b32_e32 v64, 15, v0                                  // 00000000268C: 2680008F
	v_lshlrev_b32_e32 v6, 4, v64                               // 000000002690: 240C8084
	s_mul_i32 s61, s2, s69                                     // 000000002694: 923D4502
	s_mul_i32 s60, s7, 0x100                                   // 000000002698: 923CFF07 00000100
	s_add_u32 s60, s60, s61                                    // 0000000026A0: 803C3D3C
	s_add_u32 s20, s60, s20                                    // 0000000026A4: 8014143C
	s_addc_u32 s21, 0, s21                                     // 0000000026A8: 82151580
	s_waitcnt vmcnt(4)                                         // 0000000026AC: BF8C0F74
	v_mul_u32_u24_dpp v64, v16, v54 row_newbcast:0 row_mask:0xf bank_mask:0xf// 0000000026B0: 10806CFA FF015010
	v_mul_u32_u24_dpp v65, v16, v54 row_newbcast:4 row_mask:0xf bank_mask:0xf// 0000000026B8: 10826CFA FF015410
	v_mul_u32_u24_dpp v66, v16, v54 row_newbcast:8 row_mask:0xf bank_mask:0xf// 0000000026C0: 10846CFA FF015810
	v_mul_u32_u24_dpp v67, v16, v54 row_newbcast:12 row_mask:0xf bank_mask:0xf// 0000000026C8: 10866CFA FF015C10
	v_add_u32_e32 v22, v64, v5                                 // 0000000026D0: 682C0B40
	v_add_u32_e32 v23, v65, v5                                 // 0000000026D4: 682E0B41
	v_add_u32_e32 v24, v66, v5                                 // 0000000026D8: 68300B42
	v_add_u32_e32 v25, v67, v5                                 // 0000000026DC: 68320B43
	v_mul_u32_u24_dpp v64, v16, v54 row_newbcast:1 row_mask:0xf bank_mask:0xf// 0000000026E0: 10806CFA FF015110
	v_mul_u32_u24_dpp v65, v16, v54 row_newbcast:5 row_mask:0xf bank_mask:0xf// 0000000026E8: 10826CFA FF015510
	v_mul_u32_u24_dpp v66, v16, v54 row_newbcast:9 row_mask:0xf bank_mask:0xf// 0000000026F0: 10846CFA FF015910
	v_mul_u32_u24_dpp v67, v16, v54 row_newbcast:13 row_mask:0xf bank_mask:0xf// 0000000026F8: 10866CFA FF015D10
	v_add_u32_e32 v30, v64, v6                                 // 000000002700: 683C0D40
	v_add_u32_e32 v31, v65, v6                                 // 000000002704: 683E0D41
	v_add_u32_e32 v32, v66, v6                                 // 000000002708: 68400D42
	v_add_u32_e32 v33, v67, v6                                 // 00000000270C: 68420D43
	v_mul_u32_u24_dpp v64, v16, v63 quad_perm:[0,0,0,0] row_mask:0xf bank_mask:0xf// 000000002710: 10807EFA FF000010
	v_add_u32_e32 v2, v64, v59                                 // 000000002718: 68047740
	v_mul_u32_u24_dpp v64, v16, v63 quad_perm:[0,0,0,0] row_mask:0xf bank_mask:0xf// 00000000271C: 10807EFA FF000010
	v_add_u32_e32 v55, v64, v60                                // 000000002724: 686E7940
	buffer_load_dword v42, v2, s[32:35], 0 offen               // 000000002728: E0501000 80082A02
	buffer_load_dwordx4 a[0:3], v22, s[16:19], 0 offen         // 000000002730: E05C1000 80840016
	buffer_load_dwordx4 a[4:7], v22, s[16:19], 0 offen offset:1024// 000000002738: E05C1400 80840416
	buffer_load_dwordx4 a[8:11], v23, s[16:19], 0 offen        // 000000002740: E05C1000 80840817
	buffer_load_dwordx4 a[12:15], v23, s[16:19], 0 offen offset:1024// 000000002748: E05C1400 80840C17
	buffer_load_dwordx4 a[16:19], v24, s[16:19], 0 offen       // 000000002750: E05C1000 80841018
	buffer_load_dwordx4 a[20:23], v24, s[16:19], 0 offen offset:1024// 000000002758: E05C1400 80841418
	buffer_load_dwordx4 a[24:27], v25, s[16:19], 0 offen       // 000000002760: E05C1000 80841819
	buffer_load_dwordx4 a[28:31], v25, s[16:19], 0 offen offset:1024// 000000002768: E05C1400 80841C19
	buffer_load_dword v57, v55, s[36:39], 0 offen              // 000000002770: E0501000 80093937
	buffer_load_dwordx4 a[64:67], v30, s[20:23], 0 offen       // 000000002778: E05C1000 8085401E
	buffer_load_dwordx4 a[68:71], v31, s[20:23], 0 offen       // 000000002780: E05C1000 8085441F
	buffer_load_dwordx4 a[72:75], v32, s[20:23], 0 offen       // 000000002788: E05C1000 80854820
	buffer_load_dwordx4 a[76:79], v33, s[20:23], 0 offen       // 000000002790: E05C1000 80854C21
	buffer_load_dwordx4 a[80:83], v30, s[20:23], 0 offen offset:1024// 000000002798: E05C1400 8085501E
	buffer_load_dwordx4 a[84:87], v31, s[20:23], 0 offen offset:1024// 0000000027A0: E05C1400 8085541F
	buffer_load_dwordx4 a[88:91], v32, s[20:23], 0 offen offset:1024// 0000000027A8: E05C1400 80855820
	buffer_load_dwordx4 a[92:95], v33, s[20:23], 0 offen offset:1024// 0000000027B0: E05C1400 80855C21
	v_lshrrev_b32_e32 v64, 4, v0                               // 0000000027B8: 20800084
	v_lshlrev_b32_e32 v65, 1, v64                              // 0000000027BC: 24828081
	v_and_b32_e32 v64, 15, v0                                  // 0000000027C0: 2680008F
	v_mul_i32_i24_e32 v64, 0x42, v64                           // 0000000027C4: 0C8080FF 00000042
	v_add_u32_e32 v65, v64, v65                                // 0000000027CC: 68828340
	v_lshlrev_b32_e32 v4, 2, v65                               // 0000000027D0: 24088282
	s_mul_i32 s60, s7, 32                                      // 0000000027D4: 923CA007
	v_add_u32_e32 v4, s60, v4                                  // 0000000027D8: 6808083C
	s_waitcnt vmcnt(16) lgkmcnt(0)                             // 0000000027DC: BF8C4070
	s_barrier                                                  // 0000000027E0: BF8A0000
	ds_read_b64 v[80:81], v4                                   // 0000000027E4: D8EC0000 50000004
	ds_read_b64 v[84:85], v4 offset:128                        // 0000000027EC: D8EC0080 54000004
	s_waitcnt lgkmcnt(0)                                       // 0000000027F4: BF8CC07F
	v_and_b32_e32 v83, 0xffff0000, v81                         // 0000000027F8: 26A6A2FF FFFF0000
	v_lshlrev_b32_e32 v82, 16, v81                             // 000000002800: 24A4A290
	v_and_b32_e32 v81, 0xffff0000, v80                         // 000000002804: 26A2A0FF FFFF0000
	v_lshlrev_b32_e32 v80, 16, v80                             // 00000000280C: 24A0A090
	v_and_b32_e32 v87, 0xffff0000, v85                         // 000000002810: 26AEAAFF FFFF0000
	v_lshlrev_b32_e32 v86, 16, v85                             // 000000002818: 24ACAA90
	v_and_b32_e32 v85, 0xffff0000, v84                         // 00000000281C: 26AAA8FF FFFF0000
	v_lshlrev_b32_e32 v84, 16, v84                             // 000000002824: 24A8A890
	v_mov_b32_e32 v48, 0x358637bd                              // 000000002828: 7E6002FF 358637BD
	v_max3_f32 v48, |v80|, |v81|, v48                          // 000000002830: D1D30330 04C2A350
	v_max3_f32 v48, |v82|, |v83|, v48                          // 000000002838: D1D30330 04C2A752
	v_max3_f32 v48, |v84|, |v85|, v48                          // 000000002840: D1D30330 04C2AB54
	v_max3_f32 v48, |v86|, |v87|, v48                          // 000000002848: D1D30330 04C2AF56
	ds_write_b32 v8, v48 offset:16896                          // 000000002850: D81A4200 00003008
	s_waitcnt lgkmcnt(0)                                       // 000000002858: BF8CC07F
	s_barrier                                                  // 00000000285C: BF8A0000
	ds_read_b32 v64, v7 offset:16896                           // 000000002860: D86C4200 40000007
	ds_read_b32 v65, v7 offset:16960                           // 000000002868: D86C4240 41000007
	ds_read_b32 v66, v7 offset:17024                           // 000000002870: D86C4280 42000007
	ds_read_b32 v67, v7 offset:17088                           // 000000002878: D86C42C0 43000007
	ds_read_b32 v68, v7 offset:17152                           // 000000002880: D86C4300 44000007
	ds_read_b32 v69, v7 offset:17216                           // 000000002888: D86C4340 45000007
	ds_read_b32 v70, v7 offset:17280                           // 000000002890: D86C4380 46000007
	ds_read_b32 v71, v7 offset:17344                           // 000000002898: D86C43C0 47000007
	ds_read_b32 v72, v7 offset:17408                           // 0000000028A0: D86C4400 48000007
	ds_read_b32 v73, v7 offset:17472                           // 0000000028A8: D86C4440 49000007
	ds_read_b32 v74, v7 offset:17536                           // 0000000028B0: D86C4480 4A000007
	ds_read_b32 v75, v7 offset:17600                           // 0000000028B8: D86C44C0 4B000007
	ds_read_b32 v76, v7 offset:17664                           // 0000000028C0: D86C4500 4C000007
	ds_read_b32 v77, v7 offset:17728                           // 0000000028C8: D86C4540 4D000007
	ds_read_b32 v78, v7 offset:17792                           // 0000000028D0: D86C4580 4E000007
	ds_read_b32 v79, v7 offset:17856                           // 0000000028D8: D86C45C0 4F000007
	s_waitcnt lgkmcnt(0)                                       // 0000000028E0: BF8CC07F
	v_max3_f32 v48, |v64|, |v65|, v48                          // 0000000028E4: D1D30330 04C28340
	v_max3_f32 v48, |v66|, |v67|, v48                          // 0000000028EC: D1D30330 04C28742
	v_max3_f32 v48, |v68|, |v69|, v48                          // 0000000028F4: D1D30330 04C28B44
	v_max3_f32 v48, |v70|, |v71|, v48                          // 0000000028FC: D1D30330 04C28F46
	v_max3_f32 v48, |v72|, |v73|, v48                          // 000000002904: D1D30330 04C29348
	v_max3_f32 v48, |v74|, |v75|, v48                          // 00000000290C: D1D30330 04C2974A
	v_max3_f32 v48, |v76|, |v77|, v48                          // 000000002914: D1D30330 04C29B4C
	v_max3_f32 v48, |v78|, |v79|, v48                          // 00000000291C: D1D30330 04C29F4E
	v_rcp_f32_e32 v48, v48                                     // 000000002924: 7E604530
	s_nop 1                                                    // 000000002928: BF800001
	v_mul_f32_e32 v48, 0x42fe0000, v48                         // 00000000292C: 0A6060FF 42FE0000
	v_mul_f32_e32 v80, v48, v80                                // 000000002934: 0AA0A130
	v_mul_f32_e32 v81, v48, v81                                // 000000002938: 0AA2A330
	v_mul_f32_e32 v82, v48, v82                                // 00000000293C: 0AA4A530
	v_mul_f32_e32 v83, v48, v83                                // 000000002940: 0AA6A730
	v_mul_f32_e32 v84, v48, v84                                // 000000002944: 0AA8A930
	v_mul_f32_e32 v85, v48, v85                                // 000000002948: 0AAAAB30
	v_mul_f32_e32 v86, v48, v86                                // 00000000294C: 0AACAD30
	v_mul_f32_e32 v87, v48, v87                                // 000000002950: 0AAEAF30
	v_cvt_i32_f32_e32 v80, v80                                 // 000000002954: 7EA01150
	v_cvt_i32_f32_e32 v81, v81                                 // 000000002958: 7EA21151
	v_cvt_i32_f32_e32 v82, v82                                 // 00000000295C: 7EA41152
	v_cvt_i32_f32_e32 v83, v83                                 // 000000002960: 7EA61153
	v_cvt_i32_f32_e32 v84, v84                                 // 000000002964: 7EA81154
	v_cvt_i32_f32_e32 v85, v85                                 // 000000002968: 7EAA1155
	v_cvt_i32_f32_e32 v86, v86                                 // 00000000296C: 7EAC1156
	v_cvt_i32_f32_e32 v87, v87                                 // 000000002970: 7EAE1157
	v_rcp_f32_e32 v18, v48                                     // 000000002974: 7E244530
	v_perm_b32 v80, v81, v80, s53                              // 000000002978: D1ED0050 00D6A151
	v_perm_b32 v80, v82, v80, s54                              // 000000002980: D1ED0050 00DAA152
	v_perm_b32 v80, v83, v80, s55                              // 000000002988: D1ED0050 00DEA153
	v_perm_b32 v81, v85, v84, s53                              // 000000002990: D1ED0051 00D6A955
	v_perm_b32 v81, v86, v81, s54                              // 000000002998: D1ED0051 00DAA356
	v_perm_b32 v81, v87, v81, s55                              // 0000000029A0: D1ED0051 00DEA357
	ds_write_b32 v10, v80 offset:25088                         // 0000000029A8: D81A6200 0000500A
	ds_write_b32 v10, v81 offset:26112                         // 0000000029B0: D81A6600 0000510A
	s_waitcnt lgkmcnt(0)                                       // 0000000029B8: BF8CC07F
	s_barrier                                                  // 0000000029BC: BF8A0000
	ds_read_b64 v[80:81], v9 offset:25088                      // 0000000029C0: D8EC6200 50000009
	ds_read_b64 v[82:83], v9 offset:25216                      // 0000000029C8: D8EC6280 52000009
	ds_read_b64 v[84:85], v9 offset:26112                      // 0000000029D0: D8EC6600 54000009
	ds_read_b64 v[86:87], v9 offset:26240                      // 0000000029D8: D8EC6680 56000009
	v_mov_b32_e32 v208, 0                                      // 0000000029E0: 7FA00280
	v_mov_b32_e32 v209, 0                                      // 0000000029E4: 7FA20280
	v_mov_b32_e32 v210, 0                                      // 0000000029E8: 7FA40280
	v_mov_b32_e32 v211, 0                                      // 0000000029EC: 7FA60280
	v_mov_b32_e32 v212, 0                                      // 0000000029F0: 7FA80280
	v_mov_b32_e32 v213, 0                                      // 0000000029F4: 7FAA0280
	v_mov_b32_e32 v214, 0                                      // 0000000029F8: 7FAC0280
	v_mov_b32_e32 v215, 0                                      // 0000000029FC: 7FAE0280
	v_mov_b32_e32 v176, 0                                      // 000000002A00: 7F600280
	v_mov_b32_e32 v177, 0                                      // 000000002A04: 7F620280
	v_mov_b32_e32 v178, 0                                      // 000000002A08: 7F640280
	v_mov_b32_e32 v179, 0                                      // 000000002A0C: 7F660280
	v_mov_b32_e32 v180, 0                                      // 000000002A10: 7F680280
	v_mov_b32_e32 v181, 0                                      // 000000002A14: 7F6A0280
	v_mov_b32_e32 v182, 0                                      // 000000002A18: 7F6C0280
	v_mov_b32_e32 v183, 0                                      // 000000002A1C: 7F6E0280
	s_waitcnt vmcnt(8) lgkmcnt(0)                              // 000000002A20: BF8C0078
	s_barrier                                                  // 000000002A24: BF8A0000
	s_cmp_lt_u32 s73, 16                                       // 000000002A28: BF0A9049
	s_cbranch_scc1 label_0DDB                                  // 000000002A2C: BF850BCF
	s_cmp_lt_i32 s7, 2                                         // 000000002A30: BF048207
	s_cbranch_scc0 label_07F6                                  // 000000002A34: BF8405E8

0000000000002a38 <label_020E>:
	s_waitcnt vmcnt(8) lgkmcnt(0)                              // 000000002A38: BF8C0078
	v_mul_u32_u24_dpp v64, v17, v54 row_newbcast:0 row_mask:0xf bank_mask:0xf// 000000002A3C: 10806CFA FF015011
	v_mul_u32_u24_dpp v65, v17, v54 row_newbcast:4 row_mask:0xf bank_mask:0xf// 000000002A44: 10826CFA FF015411
	v_mul_u32_u24_dpp v66, v17, v54 row_newbcast:8 row_mask:0xf bank_mask:0xf// 000000002A4C: 10846CFA FF015811
	v_mul_u32_u24_dpp v67, v17, v54 row_newbcast:12 row_mask:0xf bank_mask:0xf// 000000002A54: 10866CFA FF015C11
	v_add_u32_e32 v26, v64, v5                                 // 000000002A5C: 68340B40
	v_add_u32_e32 v27, v65, v5                                 // 000000002A60: 68360B41
	v_add_u32_e32 v28, v66, v5                                 // 000000002A64: 68380B42
	v_add_u32_e32 v29, v67, v5                                 // 000000002A68: 683A0B43
	v_mul_u32_u24_dpp v64, v17, v63 quad_perm:[0,0,0,0] row_mask:0xf bank_mask:0xf// 000000002A6C: 10807EFA FF000011
	v_add_u32_e32 v3, v64, v59                                 // 000000002A74: 68067740
	v_mul_u32_u24_dpp v64, v17, v63 quad_perm:[0,0,0,0] row_mask:0xf bank_mask:0xf// 000000002A78: 10807EFA FF000011
	v_add_u32_e32 v56, v64, v60                                // 000000002A80: 68707940
	v_mfma_i32_16x16x32_i8 v[112:115], a[0:1], v[80:81], 0     // 000000002A84: D3D70070 0A02A100
	v_mfma_i32_16x16x32_i8 v[112:115], a[2:3], v[82:83], v[112:115]// 000000002A8C: D3D70070 0DC2A502
	buffer_load_dwordx4 a[32:35], v26, s[16:19], 0 offen       // 000000002A94: E05C1000 8084201A
	v_mfma_i32_16x16x32_i8 v[112:115], a[4:5], v[84:85], v[112:115]// 000000002A9C: D3D70070 0DC2A904
	v_mfma_i32_16x16x32_i8 v[112:115], a[6:7], v[86:87], v[112:115]// 000000002AA4: D3D70070 0DC2AD06
	buffer_load_dword v16, v1, s[24:27], 0 offen               // 000000002AAC: E0501000 80061001
	v_mfma_i32_16x16x32_i8 v[116:119], a[8:9], v[80:81], 0     // 000000002AB4: D3D70074 0A02A108
	v_mfma_i32_16x16x32_i8 v[116:119], a[10:11], v[82:83], v[116:119]// 000000002ABC: D3D70074 0DD2A50A
	buffer_load_dwordx4 a[36:39], v26, s[16:19], 0 offen offset:1024// 000000002AC4: E05C1400 8084241A
	v_mfma_i32_16x16x32_i8 v[116:119], a[12:13], v[84:85], v[116:119]// 000000002ACC: D3D70074 0DD2A90C
	v_mfma_i32_16x16x32_i8 v[116:119], a[14:15], v[86:87], v[116:119]// 000000002AD4: D3D70074 0DD2AD0E
	v_mfma_i32_16x16x32_i8 v[120:123], a[16:17], v[80:81], 0   // 000000002ADC: D3D70078 0A02A110
	v_mfma_i32_16x16x32_i8 v[120:123], a[18:19], v[82:83], v[120:123]// 000000002AE4: D3D70078 0DE2A512
	buffer_load_dwordx4 a[40:43], v27, s[16:19], 0 offen       // 000000002AEC: E05C1000 8084281B
	v_mfma_i32_16x16x32_i8 v[120:123], a[20:21], v[84:85], v[120:123]// 000000002AF4: D3D70078 0DE2A914
	v_mfma_i32_16x16x32_i8 v[120:123], a[22:23], v[86:87], v[120:123]// 000000002AFC: D3D70078 0DE2AD16
	v_mfma_i32_16x16x32_i8 v[124:127], a[24:25], v[80:81], 0   // 000000002B04: D3D7007C 0A02A118
	v_mfma_i32_16x16x32_i8 v[124:127], a[26:27], v[82:83], v[124:127]// 000000002B0C: D3D7007C 0DF2A51A
	buffer_load_dwordx4 a[44:47], v27, s[16:19], 0 offen offset:1024// 000000002B14: E05C1400 80842C1B
	v_mfma_i32_16x16x32_i8 v[124:127], a[28:29], v[84:85], v[124:127]// 000000002B1C: D3D7007C 0DF2A91C
	v_mfma_i32_16x16x32_i8 v[124:127], a[30:31], v[86:87], v[124:127]// 000000002B24: D3D7007C 0DF2AD1E
	buffer_load_dword v43, v3, s[32:35], 0 offen               // 000000002B2C: E0501000 80082B03
	v_mov_b32_dpp v64, v42 row_shr:4 row_mask:0xf bank_mask:0xf// 000000002B34: 7E8002FA FF01142A
	v_mov_b32_dpp v65, v42 row_shl:4 row_mask:0xf bank_mask:0xf// 000000002B3C: 7E8202FA FF01042A
	v_cndmask_b32_e64 v248, v42, v64, s[44:45]                 // 000000002B44: D10000F8 00B2812A
	v_cndmask_b32_e64 v249, v65, v42, s[44:45]                 // 000000002B4C: D10000F9 00B25541
	v_mov_b32_dpp v64, v248 row_shr:8 row_mask:0xf bank_mask:0xf// 000000002B54: 7E8002FA FF0118F8
	v_mov_b32_dpp v65, v248 row_shl:8 row_mask:0xf bank_mask:0xf// 000000002B5C: 7E8202FA FF0108F8
	v_mov_b32_dpp v66, v249 row_shr:8 row_mask:0xf bank_mask:0xf// 000000002B64: 7E8402FA FF0118F9
	v_mov_b32_dpp v67, v249 row_shl:8 row_mask:0xf bank_mask:0xf// 000000002B6C: 7E8602FA FF0108F9
	v_mov_b32_e32 v68, v248                                    // 000000002B74: 7E8803F8
	v_mov_b32_e32 v69, v249                                    // 000000002B78: 7E8A03F9
	v_cndmask_b32_e64 v248, v68, v64, s[42:43]                 // 000000002B7C: D10000F8 00AA8144
	v_cndmask_b32_e64 v250, v68, v65, s[78:79]                 // 000000002B84: D10000FA 013A8344
	v_cndmask_b32_e64 v249, v69, v66, s[42:43]                 // 000000002B8C: D10000F9 00AA8545
	v_cndmask_b32_e64 v251, v69, v67, s[78:79]                 // 000000002B94: D10000FB 013A8745
	v_mov_b32_dpp v64, v57 row_shr:4 row_mask:0xf bank_mask:0xf// 000000002B9C: 7E8002FA FF011439
	v_mov_b32_dpp v65, v57 row_shl:4 row_mask:0xf bank_mask:0xf// 000000002BA4: 7E8202FA FF010439
	v_cndmask_b32_e64 v252, v57, v64, s[44:45]                 // 000000002BAC: D10000FC 00B28139
	v_cndmask_b32_e64 v253, v65, v57, s[44:45]                 // 000000002BB4: D10000FD 00B27341
	v_mov_b32_dpp v64, v252 row_shr:8 row_mask:0xf bank_mask:0xf// 000000002BBC: 7E8002FA FF0118FC
	v_mov_b32_dpp v65, v252 row_shl:8 row_mask:0xf bank_mask:0xf// 000000002BC4: 7E8202FA FF0108FC
	v_mov_b32_dpp v66, v253 row_shr:8 row_mask:0xf bank_mask:0xf// 000000002BCC: 7E8402FA FF0118FD
	v_mov_b32_dpp v67, v253 row_shl:8 row_mask:0xf bank_mask:0xf// 000000002BD4: 7E8602FA FF0108FD
	v_mov_b32_e32 v68, v252                                    // 000000002BDC: 7E8803FC
	v_mov_b32_e32 v69, v253                                    // 000000002BE0: 7E8A03FD
	v_cndmask_b32_e64 v252, v68, v64, s[42:43]                 // 000000002BE4: D10000FC 00AA8144
	v_cndmask_b32_e64 v254, v68, v65, s[78:79]                 // 000000002BEC: D10000FE 013A8344
	v_cndmask_b32_e64 v253, v69, v66, s[42:43]                 // 000000002BF4: D10000FD 00AA8545
	v_cndmask_b32_e64 v255, v69, v67, s[78:79]                 // 000000002BFC: D10000FF 013A8745
	buffer_load_dword v58, v56, s[36:39], 0 offen              // 000000002C04: E0501000 80093A38
	v_cvt_f32_i32_e32 v112, v112                               // 000000002C0C: 7EE00B70
	v_cvt_f32_i32_e32 v113, v113                               // 000000002C10: 7EE20B71
	v_cvt_f32_i32_e32 v114, v114                               // 000000002C14: 7EE40B72
	v_cvt_f32_i32_e32 v115, v115                               // 000000002C18: 7EE60B73
	v_cvt_f32_i32_e32 v116, v116                               // 000000002C1C: 7EE80B74
	v_cvt_f32_i32_e32 v117, v117                               // 000000002C20: 7EEA0B75
	v_cvt_f32_i32_e32 v118, v118                               // 000000002C24: 7EEC0B76
	v_cvt_f32_i32_e32 v119, v119                               // 000000002C28: 7EEE0B77
	v_cvt_f32_i32_e32 v120, v120                               // 000000002C2C: 7EF00B78
	v_cvt_f32_i32_e32 v121, v121                               // 000000002C30: 7EF20B79
	v_cvt_f32_i32_e32 v122, v122                               // 000000002C34: 7EF40B7A
	v_cvt_f32_i32_e32 v123, v123                               // 000000002C38: 7EF60B7B
	v_cvt_f32_i32_e32 v124, v124                               // 000000002C3C: 7EF80B7C
	v_cvt_f32_i32_e32 v125, v125                               // 000000002C40: 7EFA0B7D
	v_cvt_f32_i32_e32 v126, v126                               // 000000002C44: 7EFC0B7E
	v_cvt_f32_i32_e32 v127, v127                               // 000000002C48: 7EFE0B7F
	v_mul_f32_e32 v112, v18, v112                              // 000000002C4C: 0AE0E112
	v_mul_f32_e32 v113, v18, v113                              // 000000002C50: 0AE2E312
	v_mul_f32_e32 v114, v18, v114                              // 000000002C54: 0AE4E512
	v_mul_f32_e32 v115, v18, v115                              // 000000002C58: 0AE6E712
	v_mul_f32_e32 v116, v18, v116                              // 000000002C5C: 0AE8E912
	v_mul_f32_e32 v117, v18, v117                              // 000000002C60: 0AEAEB12
	v_mul_f32_e32 v118, v18, v118                              // 000000002C64: 0AECED12
	v_mul_f32_e32 v119, v18, v119                              // 000000002C68: 0AEEEF12
	v_mul_f32_e32 v120, v18, v120                              // 000000002C6C: 0AF0F112
	v_mul_f32_e32 v121, v18, v121                              // 000000002C70: 0AF2F312
	v_mul_f32_e32 v122, v18, v122                              // 000000002C74: 0AF4F512
	v_mul_f32_e32 v123, v18, v123                              // 000000002C78: 0AF6F712
	v_mul_f32_e32 v124, v18, v124                              // 000000002C7C: 0AF8F912
	v_mul_f32_e32 v125, v18, v125                              // 000000002C80: 0AFAFB12
	v_mul_f32_e32 v126, v18, v126                              // 000000002C84: 0AFCFD12
	v_mul_f32_e32 v127, v18, v127                              // 000000002C88: 0AFEFF12
	buffer_load_dwordx4 a[48:51], v28, s[16:19], 0 offen       // 000000002C8C: E05C1000 8084301C
	v_mul_f32_dpp v112, v248, v112 quad_perm:[0,0,0,0] row_mask:0xf bank_mask:0xf// 000000002C94: 0AE0E0FA FF0000F8
	v_mul_f32_dpp v113, v248, v113 quad_perm:[1,1,1,1] row_mask:0xf bank_mask:0xf// 000000002C9C: 0AE2E2FA FF0055F8
	v_mul_f32_dpp v114, v248, v114 quad_perm:[2,2,2,2] row_mask:0xf bank_mask:0xf// 000000002CA4: 0AE4E4FA FF00AAF8
	v_mul_f32_dpp v115, v248, v115 quad_perm:[3,3,3,3] row_mask:0xf bank_mask:0xf// 000000002CAC: 0AE6E6FA FF00FFF8
	v_mul_f32_dpp v116, v249, v116 quad_perm:[0,0,0,0] row_mask:0xf bank_mask:0xf// 000000002CB4: 0AE8E8FA FF0000F9
	v_mul_f32_dpp v117, v249, v117 quad_perm:[1,1,1,1] row_mask:0xf bank_mask:0xf// 000000002CBC: 0AEAEAFA FF0055F9
	v_mul_f32_dpp v118, v249, v118 quad_perm:[2,2,2,2] row_mask:0xf bank_mask:0xf// 000000002CC4: 0AECECFA FF00AAF9
	v_mul_f32_dpp v119, v249, v119 quad_perm:[3,3,3,3] row_mask:0xf bank_mask:0xf// 000000002CCC: 0AEEEEFA FF00FFF9
	v_mul_f32_dpp v120, v250, v120 quad_perm:[0,0,0,0] row_mask:0xf bank_mask:0xf// 000000002CD4: 0AF0F0FA FF0000FA
	v_mul_f32_dpp v121, v250, v121 quad_perm:[1,1,1,1] row_mask:0xf bank_mask:0xf// 000000002CDC: 0AF2F2FA FF0055FA
	v_mul_f32_dpp v122, v250, v122 quad_perm:[2,2,2,2] row_mask:0xf bank_mask:0xf// 000000002CE4: 0AF4F4FA FF00AAFA
	v_mul_f32_dpp v123, v250, v123 quad_perm:[3,3,3,3] row_mask:0xf bank_mask:0xf// 000000002CEC: 0AF6F6FA FF00FFFA
	v_mul_f32_dpp v124, v251, v124 quad_perm:[0,0,0,0] row_mask:0xf bank_mask:0xf// 000000002CF4: 0AF8F8FA FF0000FB
	v_mul_f32_dpp v125, v251, v125 quad_perm:[1,1,1,1] row_mask:0xf bank_mask:0xf// 000000002CFC: 0AFAFAFA FF0055FB
	v_mul_f32_dpp v126, v251, v126 quad_perm:[2,2,2,2] row_mask:0xf bank_mask:0xf// 000000002D04: 0AFCFCFA FF00AAFB
	v_mul_f32_dpp v127, v251, v127 quad_perm:[3,3,3,3] row_mask:0xf bank_mask:0xf// 000000002D0C: 0AFEFEFA FF00FFFB
	buffer_load_dwordx4 a[52:55], v28, s[16:19], 0 offen offset:1024// 000000002D14: E05C1400 8084341C
	s_cmp_le_i32 s90, s89                                      // 000000002D1C: BF05595A
	s_cbranch_scc1 label_033A                                  // 000000002D20: BF850071
	v_mov_b32_e32 v66, 0xff800000                              // 000000002D24: 7E8402FF FF800000
	s_mov_b32 s60, s90                                         // 000000002D2C: BEBC005A
	s_add_u32 s61, s89, 0xff                                   // 000000002D30: 803DFF59 000000FF
	v_mov_b32_e32 v64, s61                                     // 000000002D38: 7E80023D
	v_lshrrev_b32_e32 v240, 4, v0                              // 000000002D3C: 21E00084
	v_mul_i32_i24_e32 v240, 4, v240                            // 000000002D40: 0DE1E084
	v_add_u32_e32 v240, s60, v240                              // 000000002D44: 69E1E03C
	s_mov_b32 s61, 0                                           // 000000002D48: BEBD0080
	s_mul_i32 s60, 16, s7                                      // 000000002D4C: 923C0790
	v_sub_u32_e64 v240, v240, s61                              // 000000002D50: D13500F0 00007BF0
	v_add_u32_e32 v240, s60, v240                              // 000000002D58: 69E1E03C
	v_add_u32_e32 v241, 1, v240                                // 000000002D5C: 69E3E081
	v_add_u32_e32 v242, 2, v240                                // 000000002D60: 69E5E082
	v_add_u32_e32 v243, 3, v240                                // 000000002D64: 69E7E083
	v_cmp_le_u32_e64 s[40:41], v240, v64                       // 000000002D68: D0CB0028 000281F0
	v_add_u32_e32 v240, 64, v240                               // 000000002D70: 69E1E0C0
	s_nop 0                                                    // 000000002D74: BF800000
	v_cndmask_b32_e64 v112, v66, v112, s[40:41]                // 000000002D78: D1000070 00A2E142
	v_cmp_le_u32_e64 s[40:41], v241, v64                       // 000000002D80: D0CB0028 000281F1
	v_add_u32_e32 v241, 64, v241                               // 000000002D88: 69E3E2C0
	s_nop 0                                                    // 000000002D8C: BF800000
	v_cndmask_b32_e64 v113, v66, v113, s[40:41]                // 000000002D90: D1000071 00A2E342
	v_cmp_le_u32_e64 s[40:41], v242, v64                       // 000000002D98: D0CB0028 000281F2
	v_add_u32_e32 v242, 64, v242                               // 000000002DA0: 69E5E4C0
	s_nop 0                                                    // 000000002DA4: BF800000
	v_cndmask_b32_e64 v114, v66, v114, s[40:41]                // 000000002DA8: D1000072 00A2E542
	v_cmp_le_u32_e64 s[40:41], v243, v64                       // 000000002DB0: D0CB0028 000281F3
	v_add_u32_e32 v243, 64, v243                               // 000000002DB8: 69E7E6C0
	s_nop 0                                                    // 000000002DBC: BF800000
	v_cndmask_b32_e64 v115, v66, v115, s[40:41]                // 000000002DC0: D1000073 00A2E742
	v_cmp_le_u32_e64 s[40:41], v240, v64                       // 000000002DC8: D0CB0028 000281F0
	v_add_u32_e32 v240, 64, v240                               // 000000002DD0: 69E1E0C0
	s_nop 0                                                    // 000000002DD4: BF800000
	v_cndmask_b32_e64 v116, v66, v116, s[40:41]                // 000000002DD8: D1000074 00A2E942
	v_cmp_le_u32_e64 s[40:41], v241, v64                       // 000000002DE0: D0CB0028 000281F1
	v_add_u32_e32 v241, 64, v241                               // 000000002DE8: 69E3E2C0
	s_nop 0                                                    // 000000002DEC: BF800000
	v_cndmask_b32_e64 v117, v66, v117, s[40:41]                // 000000002DF0: D1000075 00A2EB42
	v_cmp_le_u32_e64 s[40:41], v242, v64                       // 000000002DF8: D0CB0028 000281F2
	v_add_u32_e32 v242, 64, v242                               // 000000002E00: 69E5E4C0
	s_nop 0                                                    // 000000002E04: BF800000
	v_cndmask_b32_e64 v118, v66, v118, s[40:41]                // 000000002E08: D1000076 00A2ED42
	v_cmp_le_u32_e64 s[40:41], v243, v64                       // 000000002E10: D0CB0028 000281F3
	v_add_u32_e32 v243, 64, v243                               // 000000002E18: 69E7E6C0
	s_nop 0                                                    // 000000002E1C: BF800000
	v_cndmask_b32_e64 v119, v66, v119, s[40:41]                // 000000002E20: D1000077 00A2EF42
	v_cmp_le_u32_e64 s[40:41], v240, v64                       // 000000002E28: D0CB0028 000281F0
	v_add_u32_e32 v240, 64, v240                               // 000000002E30: 69E1E0C0
	s_nop 0                                                    // 000000002E34: BF800000
	v_cndmask_b32_e64 v120, v66, v120, s[40:41]                // 000000002E38: D1000078 00A2F142
	v_cmp_le_u32_e64 s[40:41], v241, v64                       // 000000002E40: D0CB0028 000281F1
	v_add_u32_e32 v241, 64, v241                               // 000000002E48: 69E3E2C0
	s_nop 0                                                    // 000000002E4C: BF800000
	v_cndmask_b32_e64 v121, v66, v121, s[40:41]                // 000000002E50: D1000079 00A2F342
	v_cmp_le_u32_e64 s[40:41], v242, v64                       // 000000002E58: D0CB0028 000281F2
	v_add_u32_e32 v242, 64, v242                               // 000000002E60: 69E5E4C0
	s_nop 0                                                    // 000000002E64: BF800000
	v_cndmask_b32_e64 v122, v66, v122, s[40:41]                // 000000002E68: D100007A 00A2F542
	v_cmp_le_u32_e64 s[40:41], v243, v64                       // 000000002E70: D0CB0028 000281F3
	v_add_u32_e32 v243, 64, v243                               // 000000002E78: 69E7E6C0
	s_nop 0                                                    // 000000002E7C: BF800000
	v_cndmask_b32_e64 v123, v66, v123, s[40:41]                // 000000002E80: D100007B 00A2F742
	v_cmp_le_u32_e64 s[40:41], v240, v64                       // 000000002E88: D0CB0028 000281F0
	v_add_u32_e32 v240, 64, v240                               // 000000002E90: 69E1E0C0
	s_nop 0                                                    // 000000002E94: BF800000
	v_cndmask_b32_e64 v124, v66, v124, s[40:41]                // 000000002E98: D100007C 00A2F942
	v_cmp_le_u32_e64 s[40:41], v241, v64                       // 000000002EA0: D0CB0028 000281F1
	v_add_u32_e32 v241, 64, v241                               // 000000002EA8: 69E3E2C0
	s_nop 0                                                    // 000000002EAC: BF800000
	v_cndmask_b32_e64 v125, v66, v125, s[40:41]                // 000000002EB0: D100007D 00A2FB42
	v_cmp_le_u32_e64 s[40:41], v242, v64                       // 000000002EB8: D0CB0028 000281F2
	v_add_u32_e32 v242, 64, v242                               // 000000002EC0: 69E5E4C0
	s_nop 0                                                    // 000000002EC4: BF800000
	v_cndmask_b32_e64 v126, v66, v126, s[40:41]                // 000000002EC8: D100007E 00A2FD42
	v_cmp_le_u32_e64 s[40:41], v243, v64                       // 000000002ED0: D0CB0028 000281F3
	v_add_u32_e32 v243, 64, v243                               // 000000002ED8: 69E7E6C0
	s_nop 0                                                    // 000000002EDC: BF800000
	v_cndmask_b32_e64 v127, v66, v127, s[40:41]                // 000000002EE0: D100007F 00A2FF42

0000000000002ee8 <label_033A>:
	s_add_u32 s90, s91, s90                                    // 000000002EE8: 805A5A5B
	v_mov_b32_e32 v48, v112                                    // 000000002EEC: 7E600370
	v_max3_f32 v48, v112, v113, v48                            // 000000002EF0: D1D30030 04C2E370
	v_max3_f32 v48, v114, v115, v48                            // 000000002EF8: D1D30030 04C2E772
	v_max3_f32 v48, v116, v117, v48                            // 000000002F00: D1D30030 04C2EB74
	v_max3_f32 v48, v118, v119, v48                            // 000000002F08: D1D30030 04C2EF76
	v_max3_f32 v48, v120, v121, v48                            // 000000002F10: D1D30030 04C2F378
	v_max3_f32 v48, v122, v123, v48                            // 000000002F18: D1D30030 04C2F77A
	v_max3_f32 v48, v124, v125, v48                            // 000000002F20: D1D30030 04C2FB7C
	v_max3_f32 v48, v126, v127, v48                            // 000000002F28: D1D30030 04C2FF7E
	ds_write_b32 v8, v48 offset:16896                          // 000000002F30: D81A4200 00003008
	buffer_load_dwordx4 a[56:59], v29, s[16:19], 0 offen       // 000000002F38: E05C1000 8084381D
	v_mul_u32_u24_dpp v64, v17, v54 row_newbcast:1 row_mask:0xf bank_mask:0xf// 000000002F40: 10806CFA FF015111
	v_mul_u32_u24_dpp v65, v17, v54 row_newbcast:5 row_mask:0xf bank_mask:0xf// 000000002F48: 10826CFA FF015511
	v_mul_u32_u24_dpp v66, v17, v54 row_newbcast:9 row_mask:0xf bank_mask:0xf// 000000002F50: 10846CFA FF015911
	v_mul_u32_u24_dpp v67, v17, v54 row_newbcast:13 row_mask:0xf bank_mask:0xf// 000000002F58: 10866CFA FF015D11
	v_add_u32_e32 v34, v64, v6                                 // 000000002F60: 68440D40
	v_add_u32_e32 v35, v65, v6                                 // 000000002F64: 68460D41
	v_add_u32_e32 v36, v66, v6                                 // 000000002F68: 68480D42
	v_add_u32_e32 v37, v67, v6                                 // 000000002F6C: 684A0D43
	v_mul_f32_e32 v208, v49, v208                              // 000000002F70: 0BA1A131
	v_mul_f32_e32 v209, v49, v209                              // 000000002F74: 0BA3A331
	v_mul_f32_e32 v210, v49, v210                              // 000000002F78: 0BA5A531
	v_mul_f32_e32 v211, v49, v211                              // 000000002F7C: 0BA7A731
	v_mul_f32_e32 v212, v49, v212                              // 000000002F80: 0BA9A931
	v_mul_f32_e32 v213, v49, v213                              // 000000002F84: 0BABAB31
	v_mul_f32_e32 v214, v49, v214                              // 000000002F88: 0BADAD31
	v_mul_f32_e32 v215, v49, v215                              // 000000002F8C: 0BAFAF31
	s_waitcnt lgkmcnt(0)                                       // 000000002F90: BF8CC07F
	s_barrier                                                  // 000000002F94: BF8A0000
	ds_read_b32 v64, v7 offset:16896                           // 000000002F98: D86C4200 40000007
	ds_read_b32 v65, v7 offset:16960                           // 000000002FA0: D86C4240 41000007
	ds_read_b32 v66, v7 offset:17024                           // 000000002FA8: D86C4280 42000007
	ds_read_b32 v67, v7 offset:17088                           // 000000002FB0: D86C42C0 43000007
	ds_read_b32 v68, v7 offset:17152                           // 000000002FB8: D86C4300 44000007
	ds_read_b32 v69, v7 offset:17216                           // 000000002FC0: D86C4340 45000007
	ds_read_b32 v70, v7 offset:17280                           // 000000002FC8: D86C4380 46000007
	ds_read_b32 v71, v7 offset:17344                           // 000000002FD0: D86C43C0 47000007
	ds_read_b32 v72, v7 offset:17408                           // 000000002FD8: D86C4400 48000007
	ds_read_b32 v73, v7 offset:17472                           // 000000002FE0: D86C4440 49000007
	ds_read_b32 v74, v7 offset:17536                           // 000000002FE8: D86C4480 4A000007
	ds_read_b32 v75, v7 offset:17600                           // 000000002FF0: D86C44C0 4B000007
	ds_read_b32 v76, v7 offset:17664                           // 000000002FF8: D86C4500 4C000007
	ds_read_b32 v77, v7 offset:17728                           // 000000003000: D86C4540 4D000007
	ds_read_b32 v78, v7 offset:17792                           // 000000003008: D86C4580 4E000007
	ds_read_b32 v79, v7 offset:17856                           // 000000003010: D86C45C0 4F000007
	buffer_load_dwordx4 a[60:63], v29, s[16:19], 0 offen offset:1024// 000000003018: E05C1400 80843C1D
	v_cvt_f32_i32_e32 v176, v176                               // 000000003020: 7F600BB0
	v_cvt_f32_i32_e32 v177, v177                               // 000000003024: 7F620BB1
	v_cvt_f32_i32_e32 v178, v178                               // 000000003028: 7F640BB2
	v_cvt_f32_i32_e32 v179, v179                               // 00000000302C: 7F660BB3
	v_cvt_f32_i32_e32 v180, v180                               // 000000003030: 7F680BB4
	v_cvt_f32_i32_e32 v181, v181                               // 000000003034: 7F6A0BB5
	v_cvt_f32_i32_e32 v182, v182                               // 000000003038: 7F6C0BB6
	v_cvt_f32_i32_e32 v183, v183                               // 00000000303C: 7F6E0BB7
	v_mul_f32_e32 v176, v44, v176                              // 000000003040: 0B61612C
	v_mul_f32_e32 v177, v44, v177                              // 000000003044: 0B63632C
	v_mul_f32_e32 v178, v44, v178                              // 000000003048: 0B65652C
	v_mul_f32_e32 v179, v44, v179                              // 00000000304C: 0B67672C
	v_mul_f32_e32 v180, v44, v180                              // 000000003050: 0B69692C
	v_mul_f32_e32 v181, v44, v181                              // 000000003054: 0B6B6B2C
	v_mul_f32_e32 v182, v44, v182                              // 000000003058: 0B6D6D2C
	v_mul_f32_e32 v183, v44, v183                              // 00000000305C: 0B6F6F2C
	s_waitcnt lgkmcnt(0)                                       // 000000003060: BF8CC07F
	v_max3_f32 v48, v64, v65, v48                              // 000000003064: D1D30030 04C28340
	v_max3_f32 v48, v66, v67, v48                              // 00000000306C: D1D30030 04C28742
	v_max3_f32 v48, v68, v69, v48                              // 000000003074: D1D30030 04C28B44
	v_max3_f32 v48, v70, v71, v48                              // 00000000307C: D1D30030 04C28F46
	v_max3_f32 v48, v72, v73, v48                              // 000000003084: D1D30030 04C29348
	v_max3_f32 v48, v74, v75, v48                              // 00000000308C: D1D30030 04C2974A
	v_max3_f32 v48, v76, v77, v48                              // 000000003094: D1D30030 04C29B4C
	v_max3_f32 v48, v78, v79, v48                              // 00000000309C: D1D30030 04C29F4E
	buffer_load_dwordx4 a[96:99], v34, s[20:23], 0 offen       // 0000000030A4: E05C1000 80856022
	v_mov_b32_e32 v64, 0xff800000                              // 0000000030AC: 7E8002FF FF800000
	v_cmp_eq_u32_e64 s[40:41], v64, v11                        // 0000000030B4: D0CA0028 00021740
	s_nop 1                                                    // 0000000030BC: BF800001
	v_max_f32_e32 v15, v48, v11                                // 0000000030C0: 161E1730
	v_mul_f32_e32 v53, s64, v15                                // 0000000030C4: 0A6A1E40
	v_fma_f32 v112, v112, s64, -v53                            // 0000000030C8: D1CB0070 84D48170
	v_fma_f32 v113, v113, s64, -v53                            // 0000000030D0: D1CB0071 84D48171
	v_fma_f32 v114, v114, s64, -v53                            // 0000000030D8: D1CB0072 84D48172
	v_fma_f32 v115, v115, s64, -v53                            // 0000000030E0: D1CB0073 84D48173
	v_fma_f32 v116, v116, s64, -v53                            // 0000000030E8: D1CB0074 84D48174
	v_fma_f32 v117, v117, s64, -v53                            // 0000000030F0: D1CB0075 84D48175
	v_fma_f32 v118, v118, s64, -v53                            // 0000000030F8: D1CB0076 84D48176
	v_fma_f32 v119, v119, s64, -v53                            // 000000003100: D1CB0077 84D48177
	v_fma_f32 v120, v120, s64, -v53                            // 000000003108: D1CB0078 84D48178
	v_fma_f32 v121, v121, s64, -v53                            // 000000003110: D1CB0079 84D48179
	v_fma_f32 v122, v122, s64, -v53                            // 000000003118: D1CB007A 84D4817A
	v_fma_f32 v123, v123, s64, -v53                            // 000000003120: D1CB007B 84D4817B
	v_fma_f32 v124, v124, s64, -v53                            // 000000003128: D1CB007C 84D4817C
	v_fma_f32 v125, v125, s64, -v53                            // 000000003130: D1CB007D 84D4817D
	v_fma_f32 v126, v126, s64, -v53                            // 000000003138: D1CB007E 84D4817E
	v_fma_f32 v127, v127, s64, -v53                            // 000000003140: D1CB007F 84D4817F
	buffer_load_dwordx4 a[100:103], v35, s[20:23], 0 offen     // 000000003148: E05C1000 80856423
	v_exp_f32_e32 v112, v112                                   // 000000003150: 7EE04170
	v_exp_f32_e32 v113, v113                                   // 000000003154: 7EE24171
	v_exp_f32_e32 v114, v114                                   // 000000003158: 7EE44172
	v_exp_f32_e32 v115, v115                                   // 00000000315C: 7EE64173
	v_exp_f32_e32 v116, v116                                   // 000000003160: 7EE84174
	v_exp_f32_e32 v117, v117                                   // 000000003164: 7EEA4175
	v_exp_f32_e32 v118, v118                                   // 000000003168: 7EEC4176
	v_exp_f32_e32 v119, v119                                   // 00000000316C: 7EEE4177
	v_exp_f32_e32 v120, v120                                   // 000000003170: 7EF04178
	v_exp_f32_e32 v121, v121                                   // 000000003174: 7EF24179
	v_exp_f32_e32 v122, v122                                   // 000000003178: 7EF4417A
	v_exp_f32_e32 v123, v123                                   // 00000000317C: 7EF6417B
	v_exp_f32_e32 v124, v124                                   // 000000003180: 7EF8417C
	v_exp_f32_e32 v125, v125                                   // 000000003184: 7EFA417D
	v_exp_f32_e32 v126, v126                                   // 000000003188: 7EFC417E
	v_exp_f32_e32 v127, v127                                   // 00000000318C: 7EFE417F
	buffer_load_dwordx4 a[104:107], v36, s[20:23], 0 offen     // 000000003190: E05C1000 80856824
	v_mul_f32_dpp v240, v252, v112 quad_perm:[0,0,0,0] row_mask:0xf bank_mask:0xf// 000000003198: 0BE0E0FA FF0000FC
	v_mul_f32_dpp v241, v252, v113 quad_perm:[1,1,1,1] row_mask:0xf bank_mask:0xf// 0000000031A0: 0BE2E2FA FF0055FC
	v_mul_f32_dpp v242, v252, v114 quad_perm:[2,2,2,2] row_mask:0xf bank_mask:0xf// 0000000031A8: 0BE4E4FA FF00AAFC
	v_mul_f32_dpp v243, v252, v115 quad_perm:[3,3,3,3] row_mask:0xf bank_mask:0xf// 0000000031B0: 0BE6E6FA FF00FFFC
	v_mul_f32_dpp v244, v253, v116 quad_perm:[0,0,0,0] row_mask:0xf bank_mask:0xf// 0000000031B8: 0BE8E8FA FF0000FD
	v_mul_f32_dpp v245, v253, v117 quad_perm:[1,1,1,1] row_mask:0xf bank_mask:0xf// 0000000031C0: 0BEAEAFA FF0055FD
	v_mul_f32_dpp v246, v253, v118 quad_perm:[2,2,2,2] row_mask:0xf bank_mask:0xf// 0000000031C8: 0BECECFA FF00AAFD
	v_mul_f32_dpp v247, v253, v119 quad_perm:[3,3,3,3] row_mask:0xf bank_mask:0xf// 0000000031D0: 0BEEEEFA FF00FFFD
	v_mul_f32_dpp v248, v254, v120 quad_perm:[0,0,0,0] row_mask:0xf bank_mask:0xf// 0000000031D8: 0BF0F0FA FF0000FE
	v_mul_f32_dpp v249, v254, v121 quad_perm:[1,1,1,1] row_mask:0xf bank_mask:0xf// 0000000031E0: 0BF2F2FA FF0055FE
	v_mul_f32_dpp v250, v254, v122 quad_perm:[2,2,2,2] row_mask:0xf bank_mask:0xf// 0000000031E8: 0BF4F4FA FF00AAFE
	v_mul_f32_dpp v251, v254, v123 quad_perm:[3,3,3,3] row_mask:0xf bank_mask:0xf// 0000000031F0: 0BF6F6FA FF00FFFE
	v_mul_f32_dpp v252, v255, v124 quad_perm:[0,0,0,0] row_mask:0xf bank_mask:0xf// 0000000031F8: 0BF8F8FA FF0000FF
	v_mul_f32_dpp v253, v255, v125 quad_perm:[1,1,1,1] row_mask:0xf bank_mask:0xf// 000000003200: 0BFAFAFA FF0055FF
	v_mul_f32_dpp v254, v255, v126 quad_perm:[2,2,2,2] row_mask:0xf bank_mask:0xf// 000000003208: 0BFCFCFA FF00AAFF
	v_mul_f32_dpp v255, v255, v127 quad_perm:[3,3,3,3] row_mask:0xf bank_mask:0xf// 000000003210: 0BFEFEFA FF00FFFF
	v_mov_b32_e32 v48, 0x358637bd                              // 000000003218: 7E6002FF 358637BD
	v_max3_f32 v48, |v240|, |v241|, v48                        // 000000003220: D1D30330 04C3E3F0
	v_max3_f32 v48, |v242|, |v243|, v48                        // 000000003228: D1D30330 04C3E7F2
	v_max3_f32 v48, |v244|, |v245|, v48                        // 000000003230: D1D30330 04C3EBF4
	v_max3_f32 v48, |v246|, |v247|, v48                        // 000000003238: D1D30330 04C3EFF6
	v_max3_f32 v48, |v248|, |v249|, v48                        // 000000003240: D1D30330 04C3F3F8
	v_max3_f32 v48, |v250|, |v251|, v48                        // 000000003248: D1D30330 04C3F7FA
	v_max3_f32 v48, |v252|, |v253|, v48                        // 000000003250: D1D30330 04C3FBFC
	v_max3_f32 v48, |v254|, |v255|, v48                        // 000000003258: D1D30330 04C3FFFE
	buffer_load_dwordx4 a[108:111], v37, s[20:23], 0 offen     // 000000003260: E05C1000 80856C25
	ds_write_b32 v8, v48 offset:20992                          // 000000003268: D81A5200 00003008
	v_sub_f32_e32 v49, v11, v15                                // 000000003270: 04621F0B
	v_cndmask_b32_e64 v49, v49, 0, s[40:41]                    // 000000003274: D1000031 00A10131
	v_mov_b32_e32 v11, v15                                     // 00000000327C: 7E16030F
	v_mul_f32_e32 v49, s64, v49                                // 000000003280: 0A626240
	v_exp_f32_e32 v49, v49                                     // 000000003284: 7E624131
	s_waitcnt lgkmcnt(0)                                       // 000000003288: BF8CC07F
	s_barrier                                                  // 00000000328C: BF8A0000
	ds_read_b32 v64, v7 offset:20992                           // 000000003290: D86C5200 40000007
	ds_read_b32 v65, v7 offset:21056                           // 000000003298: D86C5240 41000007
	ds_read_b32 v66, v7 offset:21120                           // 0000000032A0: D86C5280 42000007
	ds_read_b32 v67, v7 offset:21184                           // 0000000032A8: D86C52C0 43000007
	ds_read_b32 v68, v7 offset:21248                           // 0000000032B0: D86C5300 44000007
	ds_read_b32 v69, v7 offset:21312                           // 0000000032B8: D86C5340 45000007
	ds_read_b32 v70, v7 offset:21376                           // 0000000032C0: D86C5380 46000007
	ds_read_b32 v71, v7 offset:21440                           // 0000000032C8: D86C53C0 47000007
	ds_read_b32 v72, v7 offset:21504                           // 0000000032D0: D86C5400 48000007
	ds_read_b32 v73, v7 offset:21568                           // 0000000032D8: D86C5440 49000007
	ds_read_b32 v74, v7 offset:21632                           // 0000000032E0: D86C5480 4A000007
	ds_read_b32 v75, v7 offset:21696                           // 0000000032E8: D86C54C0 4B000007
	ds_read_b32 v76, v7 offset:21760                           // 0000000032F0: D86C5500 4C000007
	ds_read_b32 v77, v7 offset:21824                           // 0000000032F8: D86C5540 4D000007
	ds_read_b32 v78, v7 offset:21888                           // 000000003300: D86C5580 4E000007
	ds_read_b32 v79, v7 offset:21952                           // 000000003308: D86C55C0 4F000007
	v_mul_f32_e32 v38, v49, v38                                // 000000003310: 0A4C4D31
	v_mov_b32_e32 v15, v112                                    // 000000003314: 7E1E0370
	v_add_f32_e32 v15, v113, v15                               // 000000003318: 021E1F71
	v_add_f32_e32 v15, v114, v15                               // 00000000331C: 021E1F72
	v_add_f32_e32 v15, v115, v15                               // 000000003320: 021E1F73
	v_add_f32_e32 v15, v116, v15                               // 000000003324: 021E1F74
	v_add_f32_e32 v15, v117, v15                               // 000000003328: 021E1F75
	v_add_f32_e32 v15, v118, v15                               // 00000000332C: 021E1F76
	v_add_f32_e32 v15, v119, v15                               // 000000003330: 021E1F77
	v_add_f32_e32 v15, v120, v15                               // 000000003334: 021E1F78
	v_add_f32_e32 v15, v121, v15                               // 000000003338: 021E1F79
	v_add_f32_e32 v15, v122, v15                               // 00000000333C: 021E1F7A
	v_add_f32_e32 v15, v123, v15                               // 000000003340: 021E1F7B
	v_add_f32_e32 v15, v124, v15                               // 000000003344: 021E1F7C
	v_add_f32_e32 v15, v125, v15                               // 000000003348: 021E1F7D
	v_add_f32_e32 v15, v126, v15                               // 00000000334C: 021E1F7E
	v_add_f32_e32 v15, v127, v15                               // 000000003350: 021E1F7F
	v_add_f32_e32 v38, v15, v38                                // 000000003354: 024C4D0F
	s_waitcnt lgkmcnt(0)                                       // 000000003358: BF8CC07F
	v_max3_f32 v48, |v64|, |v65|, v48                          // 00000000335C: D1D30330 04C28340
	v_max3_f32 v48, |v66|, |v67|, v48                          // 000000003364: D1D30330 04C28742
	v_max3_f32 v48, |v68|, |v69|, v48                          // 00000000336C: D1D30330 04C28B44
	v_max3_f32 v48, |v70|, |v71|, v48                          // 000000003374: D1D30330 04C28F46
	v_max3_f32 v48, |v72|, |v73|, v48                          // 00000000337C: D1D30330 04C29348
	v_max3_f32 v48, |v74|, |v75|, v48                          // 000000003384: D1D30330 04C2974A
	v_max3_f32 v48, |v76|, |v77|, v48                          // 00000000338C: D1D30330 04C29B4C
	v_max3_f32 v48, |v78|, |v79|, v48                          // 000000003394: D1D30330 04C29F4E
	s_nop 2                                                    // 00000000339C: BF800002
	v_rcp_f32_e32 v48, v48                                     // 0000000033A0: 7E604530
	s_nop 1                                                    // 0000000033A4: BF800001
	v_mul_f32_e32 v48, 0x42fe0000, v48                         // 0000000033A8: 0A6060FF 42FE0000
	v_mul_f32_e32 v112, v48, v240                              // 0000000033B0: 0AE1E130
	v_mul_f32_e32 v113, v48, v241                              // 0000000033B4: 0AE3E330
	v_mul_f32_e32 v114, v48, v242                              // 0000000033B8: 0AE5E530
	v_mul_f32_e32 v115, v48, v243                              // 0000000033BC: 0AE7E730
	v_mul_f32_e32 v116, v48, v244                              // 0000000033C0: 0AE9E930
	v_mul_f32_e32 v117, v48, v245                              // 0000000033C4: 0AEBEB30
	v_mul_f32_e32 v118, v48, v246                              // 0000000033C8: 0AEDED30
	v_mul_f32_e32 v119, v48, v247                              // 0000000033CC: 0AEFEF30
	v_mul_f32_e32 v120, v48, v248                              // 0000000033D0: 0AF1F130
	v_mul_f32_e32 v121, v48, v249                              // 0000000033D4: 0AF3F330
	v_mul_f32_e32 v122, v48, v250                              // 0000000033D8: 0AF5F530
	v_mul_f32_e32 v123, v48, v251                              // 0000000033DC: 0AF7F730
	v_mul_f32_e32 v124, v48, v252                              // 0000000033E0: 0AF9F930
	v_mul_f32_e32 v125, v48, v253                              // 0000000033E4: 0AFBFB30
	v_mul_f32_e32 v126, v48, v254                              // 0000000033E8: 0AFDFD30
	v_mul_f32_e32 v127, v48, v255                              // 0000000033EC: 0AFFFF30
	v_cvt_i32_f32_e32 v112, v112                               // 0000000033F0: 7EE01170
	v_cvt_i32_f32_e32 v113, v113                               // 0000000033F4: 7EE21171
	v_cvt_i32_f32_e32 v114, v114                               // 0000000033F8: 7EE41172
	v_cvt_i32_f32_e32 v115, v115                               // 0000000033FC: 7EE61173
	v_cvt_i32_f32_e32 v116, v116                               // 000000003400: 7EE81174
	v_cvt_i32_f32_e32 v117, v117                               // 000000003404: 7EEA1175
	v_cvt_i32_f32_e32 v118, v118                               // 000000003408: 7EEC1176
	v_cvt_i32_f32_e32 v119, v119                               // 00000000340C: 7EEE1177
	v_cvt_i32_f32_e32 v120, v120                               // 000000003410: 7EF01178
	v_cvt_i32_f32_e32 v121, v121                               // 000000003414: 7EF21179
	v_cvt_i32_f32_e32 v122, v122                               // 000000003418: 7EF4117A
	v_cvt_i32_f32_e32 v123, v123                               // 00000000341C: 7EF6117B
	v_cvt_i32_f32_e32 v124, v124                               // 000000003420: 7EF8117C
	v_cvt_i32_f32_e32 v125, v125                               // 000000003424: 7EFA117D
	v_cvt_i32_f32_e32 v126, v126                               // 000000003428: 7EFC117E
	v_cvt_i32_f32_e32 v127, v127                               // 00000000342C: 7EFE117F
	v_perm_b32 v112, v113, v112, s53                           // 000000003430: D1ED0070 00D6E171
	v_perm_b32 v112, v114, v112, s54                           // 000000003438: D1ED0070 00DAE172
	v_perm_b32 v112, v115, v112, s55                           // 000000003440: D1ED0070 00DEE173
	v_perm_b32 v113, v117, v116, s53                           // 000000003448: D1ED0071 00D6E975
	v_perm_b32 v113, v118, v113, s54                           // 000000003450: D1ED0071 00DAE376
	v_perm_b32 v113, v119, v113, s55                           // 000000003458: D1ED0071 00DEE377
	v_perm_b32 v114, v121, v120, s53                           // 000000003460: D1ED0072 00D6F179
	v_perm_b32 v114, v122, v114, s54                           // 000000003468: D1ED0072 00DAE57A
	v_perm_b32 v114, v123, v114, s55                           // 000000003470: D1ED0072 00DEE57B
	v_perm_b32 v115, v125, v124, s53                           // 000000003478: D1ED0073 00D6F97D
	v_perm_b32 v115, v126, v115, s54                           // 000000003480: D1ED0073 00DAE77E
	v_perm_b32 v115, v127, v115, s55                           // 000000003488: D1ED0073 00DEE77F
	ds_write_b32 v10, v112 offset:25088                        // 000000003490: D81A6200 0000700A
	ds_write_b32 v10, v113 offset:26112                        // 000000003498: D81A6600 0000710A
	ds_write_b32 v10, v114 offset:27136                        // 0000000034A0: D81A6A00 0000720A
	ds_write_b32 v10, v115 offset:28160                        // 0000000034A8: D81A6E00 0000730A
	v_add_f32_e32 v208, v208, v176                             // 0000000034B0: 03A161D0
	v_add_f32_e32 v209, v209, v177                             // 0000000034B4: 03A363D1
	v_add_f32_e32 v210, v210, v178                             // 0000000034B8: 03A565D2
	v_add_f32_e32 v211, v211, v179                             // 0000000034BC: 03A767D3
	v_add_f32_e32 v212, v212, v180                             // 0000000034C0: 03A969D4
	v_add_f32_e32 v213, v213, v181                             // 0000000034C4: 03AB6BD5
	v_add_f32_e32 v214, v214, v182                             // 0000000034C8: 03AD6DD6
	v_add_f32_e32 v215, v215, v183                             // 0000000034CC: 03AF6FD7
	v_rcp_f32_e32 v44, v48                                     // 0000000034D0: 7E584530
	s_waitcnt lgkmcnt(0)                                       // 0000000034D4: BF8CC07F
	s_barrier                                                  // 0000000034D8: BF8A0000
	ds_read_b64 v[112:113], v9 offset:25088                    // 0000000034DC: D8EC6200 70000009
	ds_read_b64 v[114:115], v9 offset:25216                    // 0000000034E4: D8EC6280 72000009
	ds_read_b64 v[116:117], v9 offset:26112                    // 0000000034EC: D8EC6600 74000009
	ds_read_b64 v[118:119], v9 offset:26240                    // 0000000034F4: D8EC6680 76000009
	ds_read_b64 v[120:121], v9 offset:27136                    // 0000000034FC: D8EC6A00 78000009
	ds_read_b64 v[122:123], v9 offset:27264                    // 000000003504: D8EC6A80 7A000009
	ds_read_b64 v[124:125], v9 offset:28160                    // 00000000350C: D8EC6E00 7C000009
	ds_read_b64 v[126:127], v9 offset:28288                    // 000000003514: D8EC6E80 7E000009
	s_waitcnt vmcnt(15)                                        // 00000000351C: BF8C0F7F
	s_waitcnt lgkmcnt(7)                                       // 000000003520: BF8CC77F
	v_mfma_i32_16x16x32_i8 v[176:179], a[64:65], v[112:113], 0 // 000000003524: D3D700B0 0A02E140
	s_waitcnt lgkmcnt(6)                                       // 00000000352C: BF8CC67F
	v_mfma_i32_16x16x32_i8 v[176:179], a[66:67], v[114:115], v[176:179]// 000000003530: D3D700B0 0EC2E542
	buffer_load_dwordx4 a[112:115], v34, s[20:23], 0 offen offset:1024// 000000003538: E05C1400 80857022
	s_waitcnt lgkmcnt(5)                                       // 000000003540: BF8CC57F
	v_mfma_i32_16x16x32_i8 v[176:179], a[68:69], v[116:117], v[176:179]// 000000003544: D3D700B0 0EC2E944
	s_waitcnt lgkmcnt(4)                                       // 00000000354C: BF8CC47F
	v_mfma_i32_16x16x32_i8 v[176:179], a[70:71], v[118:119], v[176:179]// 000000003550: D3D700B0 0EC2ED46
	s_waitcnt lgkmcnt(3)                                       // 000000003558: BF8CC37F
	v_mfma_i32_16x16x32_i8 v[176:179], a[72:73], v[120:121], v[176:179]// 00000000355C: D3D700B0 0EC2F148
	s_waitcnt lgkmcnt(2)                                       // 000000003564: BF8CC27F
	v_mfma_i32_16x16x32_i8 v[176:179], a[74:75], v[122:123], v[176:179]// 000000003568: D3D700B0 0EC2F54A
	buffer_load_dwordx4 a[116:119], v35, s[20:23], 0 offen offset:1024// 000000003570: E05C1400 80857423
	s_waitcnt lgkmcnt(1)                                       // 000000003578: BF8CC17F
	v_mfma_i32_16x16x32_i8 v[176:179], a[76:77], v[124:125], v[176:179]// 00000000357C: D3D700B0 0EC2F94C
	s_waitcnt lgkmcnt(0)                                       // 000000003584: BF8CC07F
	v_mfma_i32_16x16x32_i8 v[176:179], a[78:79], v[126:127], v[176:179]// 000000003588: D3D700B0 0EC2FD4E
	v_mfma_i32_16x16x32_i8 v[180:183], a[80:81], v[112:113], 0 // 000000003590: D3D700B4 0A02E150
	v_mfma_i32_16x16x32_i8 v[180:183], a[82:83], v[114:115], v[180:183]// 000000003598: D3D700B4 0ED2E552
	buffer_load_dwordx4 a[120:123], v36, s[20:23], 0 offen offset:1024// 0000000035A0: E05C1400 80857824
	v_mfma_i32_16x16x32_i8 v[180:183], a[84:85], v[116:117], v[180:183]// 0000000035A8: D3D700B4 0ED2E954
	v_mfma_i32_16x16x32_i8 v[180:183], a[86:87], v[118:119], v[180:183]// 0000000035B0: D3D700B4 0ED2ED56
	v_mfma_i32_16x16x32_i8 v[180:183], a[88:89], v[120:121], v[180:183]// 0000000035B8: D3D700B4 0ED2F158
	v_mfma_i32_16x16x32_i8 v[180:183], a[90:91], v[122:123], v[180:183]// 0000000035C0: D3D700B4 0ED2F55A
	buffer_load_dwordx4 a[124:127], v37, s[20:23], 0 offen offset:1024// 0000000035C8: E05C1400 80857C25
	v_mfma_i32_16x16x32_i8 v[180:183], a[92:93], v[124:125], v[180:183]// 0000000035D0: D3D700B4 0ED2F95C
	s_lshr_b32 s57, s70, 4                                     // 0000000035D8: 8F398446
	s_add_u32 s57, 48, s57                                     // 0000000035DC: 803939B0
	v_mfma_i32_16x16x32_i8 v[180:183], a[94:95], v[126:127], v[180:183]// 0000000035E0: D3D700B4 0ED2FD5E
	s_cmp_ge_u32 s57, s73                                      // 0000000035E8: BF094939
	s_cselect_b32 s56, 0, s56                                  // 0000000035EC: 85383880
	v_add_u32_e32 v1, s56, v1                                  // 0000000035F0: 68020238
	s_addk_i32 s70, 0x100                                      // 0000000035F4: B7460100
	s_cmp_lt_i32 s70, s71                                      // 0000000035F8: BF044746
	s_cbranch_scc0 label_07F3                                  // 0000000035FC: BF8402F3
	s_waitcnt vmcnt(8) lgkmcnt(0)                              // 000000003600: BF8C0078
	v_mul_u32_u24_dpp v64, v16, v54 row_newbcast:0 row_mask:0xf bank_mask:0xf// 000000003604: 10806CFA FF015010
	v_mul_u32_u24_dpp v65, v16, v54 row_newbcast:4 row_mask:0xf bank_mask:0xf// 00000000360C: 10826CFA FF015410
	v_mul_u32_u24_dpp v66, v16, v54 row_newbcast:8 row_mask:0xf bank_mask:0xf// 000000003614: 10846CFA FF015810
	v_mul_u32_u24_dpp v67, v16, v54 row_newbcast:12 row_mask:0xf bank_mask:0xf// 00000000361C: 10866CFA FF015C10
	v_add_u32_e32 v22, v64, v5                                 // 000000003624: 682C0B40
	v_add_u32_e32 v23, v65, v5                                 // 000000003628: 682E0B41
	v_add_u32_e32 v24, v66, v5                                 // 00000000362C: 68300B42
	v_add_u32_e32 v25, v67, v5                                 // 000000003630: 68320B43
	v_mul_u32_u24_dpp v64, v16, v63 quad_perm:[0,0,0,0] row_mask:0xf bank_mask:0xf// 000000003634: 10807EFA FF000010
	v_add_u32_e32 v2, v64, v59                                 // 00000000363C: 68047740
	v_mul_u32_u24_dpp v64, v16, v63 quad_perm:[0,0,0,0] row_mask:0xf bank_mask:0xf// 000000003640: 10807EFA FF000010
	v_add_u32_e32 v55, v64, v60                                // 000000003648: 686E7940
	v_mfma_i32_16x16x32_i8 v[112:115], a[32:33], v[80:81], 0   // 00000000364C: D3D70070 0A02A120
	v_mfma_i32_16x16x32_i8 v[112:115], a[34:35], v[82:83], v[112:115]// 000000003654: D3D70070 0DC2A522
	buffer_load_dwordx4 a[0:3], v22, s[16:19], 0 offen         // 00000000365C: E05C1000 80840016
	v_mfma_i32_16x16x32_i8 v[112:115], a[36:37], v[84:85], v[112:115]// 000000003664: D3D70070 0DC2A924
	v_mfma_i32_16x16x32_i8 v[112:115], a[38:39], v[86:87], v[112:115]// 00000000366C: D3D70070 0DC2AD26
	buffer_load_dword v17, v1, s[24:27], 0 offen               // 000000003674: E0501000 80061101
	v_mfma_i32_16x16x32_i8 v[116:119], a[40:41], v[80:81], 0   // 00000000367C: D3D70074 0A02A128
	v_mfma_i32_16x16x32_i8 v[116:119], a[42:43], v[82:83], v[116:119]// 000000003684: D3D70074 0DD2A52A
	buffer_load_dwordx4 a[4:7], v22, s[16:19], 0 offen offset:1024// 00000000368C: E05C1400 80840416
	v_mfma_i32_16x16x32_i8 v[116:119], a[44:45], v[84:85], v[116:119]// 000000003694: D3D70074 0DD2A92C
	v_mfma_i32_16x16x32_i8 v[116:119], a[46:47], v[86:87], v[116:119]// 00000000369C: D3D70074 0DD2AD2E
	v_mfma_i32_16x16x32_i8 v[120:123], a[48:49], v[80:81], 0   // 0000000036A4: D3D70078 0A02A130
	v_mfma_i32_16x16x32_i8 v[120:123], a[50:51], v[82:83], v[120:123]// 0000000036AC: D3D70078 0DE2A532
	buffer_load_dwordx4 a[8:11], v23, s[16:19], 0 offen        // 0000000036B4: E05C1000 80840817
	v_mfma_i32_16x16x32_i8 v[120:123], a[52:53], v[84:85], v[120:123]// 0000000036BC: D3D70078 0DE2A934
	v_mfma_i32_16x16x32_i8 v[120:123], a[54:55], v[86:87], v[120:123]// 0000000036C4: D3D70078 0DE2AD36
	v_mfma_i32_16x16x32_i8 v[124:127], a[56:57], v[80:81], 0   // 0000000036CC: D3D7007C 0A02A138
	v_mfma_i32_16x16x32_i8 v[124:127], a[58:59], v[82:83], v[124:127]// 0000000036D4: D3D7007C 0DF2A53A
	buffer_load_dwordx4 a[12:15], v23, s[16:19], 0 offen offset:1024// 0000000036DC: E05C1400 80840C17
	v_mfma_i32_16x16x32_i8 v[124:127], a[60:61], v[84:85], v[124:127]// 0000000036E4: D3D7007C 0DF2A93C
	v_mfma_i32_16x16x32_i8 v[124:127], a[62:63], v[86:87], v[124:127]// 0000000036EC: D3D7007C 0DF2AD3E
	buffer_load_dword v42, v2, s[32:35], 0 offen               // 0000000036F4: E0501000 80082A02
	v_mov_b32_dpp v64, v43 row_shr:4 row_mask:0xf bank_mask:0xf// 0000000036FC: 7E8002FA FF01142B
	v_mov_b32_dpp v65, v43 row_shl:4 row_mask:0xf bank_mask:0xf// 000000003704: 7E8202FA FF01042B
	v_cndmask_b32_e64 v248, v43, v64, s[44:45]                 // 00000000370C: D10000F8 00B2812B
	v_cndmask_b32_e64 v249, v65, v43, s[44:45]                 // 000000003714: D10000F9 00B25741
	v_mov_b32_dpp v64, v248 row_shr:8 row_mask:0xf bank_mask:0xf// 00000000371C: 7E8002FA FF0118F8
	v_mov_b32_dpp v65, v248 row_shl:8 row_mask:0xf bank_mask:0xf// 000000003724: 7E8202FA FF0108F8
	v_mov_b32_dpp v66, v249 row_shr:8 row_mask:0xf bank_mask:0xf// 00000000372C: 7E8402FA FF0118F9
	v_mov_b32_dpp v67, v249 row_shl:8 row_mask:0xf bank_mask:0xf// 000000003734: 7E8602FA FF0108F9
	v_mov_b32_e32 v68, v248                                    // 00000000373C: 7E8803F8
	v_mov_b32_e32 v69, v249                                    // 000000003740: 7E8A03F9
	v_cndmask_b32_e64 v248, v68, v64, s[42:43]                 // 000000003744: D10000F8 00AA8144
	v_cndmask_b32_e64 v250, v68, v65, s[78:79]                 // 00000000374C: D10000FA 013A8344
	v_cndmask_b32_e64 v249, v69, v66, s[42:43]                 // 000000003754: D10000F9 00AA8545
	v_cndmask_b32_e64 v251, v69, v67, s[78:79]                 // 00000000375C: D10000FB 013A8745
	v_mov_b32_dpp v64, v58 row_shr:4 row_mask:0xf bank_mask:0xf// 000000003764: 7E8002FA FF01143A
	v_mov_b32_dpp v65, v58 row_shl:4 row_mask:0xf bank_mask:0xf// 00000000376C: 7E8202FA FF01043A
	v_cndmask_b32_e64 v252, v58, v64, s[44:45]                 // 000000003774: D10000FC 00B2813A
	v_cndmask_b32_e64 v253, v65, v58, s[44:45]                 // 00000000377C: D10000FD 00B27541
	v_mov_b32_dpp v64, v252 row_shr:8 row_mask:0xf bank_mask:0xf// 000000003784: 7E8002FA FF0118FC
	v_mov_b32_dpp v65, v252 row_shl:8 row_mask:0xf bank_mask:0xf// 00000000378C: 7E8202FA FF0108FC
	v_mov_b32_dpp v66, v253 row_shr:8 row_mask:0xf bank_mask:0xf// 000000003794: 7E8402FA FF0118FD
	v_mov_b32_dpp v67, v253 row_shl:8 row_mask:0xf bank_mask:0xf// 00000000379C: 7E8602FA FF0108FD
	v_mov_b32_e32 v68, v252                                    // 0000000037A4: 7E8803FC
	v_mov_b32_e32 v69, v253                                    // 0000000037A8: 7E8A03FD
	v_cndmask_b32_e64 v252, v68, v64, s[42:43]                 // 0000000037AC: D10000FC 00AA8144
	v_cndmask_b32_e64 v254, v68, v65, s[78:79]                 // 0000000037B4: D10000FE 013A8344
	v_cndmask_b32_e64 v253, v69, v66, s[42:43]                 // 0000000037BC: D10000FD 00AA8545
	v_cndmask_b32_e64 v255, v69, v67, s[78:79]                 // 0000000037C4: D10000FF 013A8745
	buffer_load_dword v57, v55, s[36:39], 0 offen              // 0000000037CC: E0501000 80093937
	v_cvt_f32_i32_e32 v112, v112                               // 0000000037D4: 7EE00B70
	v_cvt_f32_i32_e32 v113, v113                               // 0000000037D8: 7EE20B71
	v_cvt_f32_i32_e32 v114, v114                               // 0000000037DC: 7EE40B72
	v_cvt_f32_i32_e32 v115, v115                               // 0000000037E0: 7EE60B73
	v_cvt_f32_i32_e32 v116, v116                               // 0000000037E4: 7EE80B74
	v_cvt_f32_i32_e32 v117, v117                               // 0000000037E8: 7EEA0B75
	v_cvt_f32_i32_e32 v118, v118                               // 0000000037EC: 7EEC0B76
	v_cvt_f32_i32_e32 v119, v119                               // 0000000037F0: 7EEE0B77
	v_cvt_f32_i32_e32 v120, v120                               // 0000000037F4: 7EF00B78
	v_cvt_f32_i32_e32 v121, v121                               // 0000000037F8: 7EF20B79
	v_cvt_f32_i32_e32 v122, v122                               // 0000000037FC: 7EF40B7A
	v_cvt_f32_i32_e32 v123, v123                               // 000000003800: 7EF60B7B
	v_cvt_f32_i32_e32 v124, v124                               // 000000003804: 7EF80B7C
	v_cvt_f32_i32_e32 v125, v125                               // 000000003808: 7EFA0B7D
	v_cvt_f32_i32_e32 v126, v126                               // 00000000380C: 7EFC0B7E
	v_cvt_f32_i32_e32 v127, v127                               // 000000003810: 7EFE0B7F
	v_mul_f32_e32 v112, v18, v112                              // 000000003814: 0AE0E112
	v_mul_f32_e32 v113, v18, v113                              // 000000003818: 0AE2E312
	v_mul_f32_e32 v114, v18, v114                              // 00000000381C: 0AE4E512
	v_mul_f32_e32 v115, v18, v115                              // 000000003820: 0AE6E712
	v_mul_f32_e32 v116, v18, v116                              // 000000003824: 0AE8E912
	v_mul_f32_e32 v117, v18, v117                              // 000000003828: 0AEAEB12
	v_mul_f32_e32 v118, v18, v118                              // 00000000382C: 0AECED12
	v_mul_f32_e32 v119, v18, v119                              // 000000003830: 0AEEEF12
	v_mul_f32_e32 v120, v18, v120                              // 000000003834: 0AF0F112
	v_mul_f32_e32 v121, v18, v121                              // 000000003838: 0AF2F312
	v_mul_f32_e32 v122, v18, v122                              // 00000000383C: 0AF4F512
	v_mul_f32_e32 v123, v18, v123                              // 000000003840: 0AF6F712
	v_mul_f32_e32 v124, v18, v124                              // 000000003844: 0AF8F912
	v_mul_f32_e32 v125, v18, v125                              // 000000003848: 0AFAFB12
	v_mul_f32_e32 v126, v18, v126                              // 00000000384C: 0AFCFD12
	v_mul_f32_e32 v127, v18, v127                              // 000000003850: 0AFEFF12
	buffer_load_dwordx4 a[16:19], v24, s[16:19], 0 offen       // 000000003854: E05C1000 80841018
	v_mul_f32_dpp v112, v248, v112 quad_perm:[0,0,0,0] row_mask:0xf bank_mask:0xf// 00000000385C: 0AE0E0FA FF0000F8
	v_mul_f32_dpp v113, v248, v113 quad_perm:[1,1,1,1] row_mask:0xf bank_mask:0xf// 000000003864: 0AE2E2FA FF0055F8
	v_mul_f32_dpp v114, v248, v114 quad_perm:[2,2,2,2] row_mask:0xf bank_mask:0xf// 00000000386C: 0AE4E4FA FF00AAF8
	v_mul_f32_dpp v115, v248, v115 quad_perm:[3,3,3,3] row_mask:0xf bank_mask:0xf// 000000003874: 0AE6E6FA FF00FFF8
	v_mul_f32_dpp v116, v249, v116 quad_perm:[0,0,0,0] row_mask:0xf bank_mask:0xf// 00000000387C: 0AE8E8FA FF0000F9
	v_mul_f32_dpp v117, v249, v117 quad_perm:[1,1,1,1] row_mask:0xf bank_mask:0xf// 000000003884: 0AEAEAFA FF0055F9
	v_mul_f32_dpp v118, v249, v118 quad_perm:[2,2,2,2] row_mask:0xf bank_mask:0xf// 00000000388C: 0AECECFA FF00AAF9
	v_mul_f32_dpp v119, v249, v119 quad_perm:[3,3,3,3] row_mask:0xf bank_mask:0xf// 000000003894: 0AEEEEFA FF00FFF9
	v_mul_f32_dpp v120, v250, v120 quad_perm:[0,0,0,0] row_mask:0xf bank_mask:0xf// 00000000389C: 0AF0F0FA FF0000FA
	v_mul_f32_dpp v121, v250, v121 quad_perm:[1,1,1,1] row_mask:0xf bank_mask:0xf// 0000000038A4: 0AF2F2FA FF0055FA
	v_mul_f32_dpp v122, v250, v122 quad_perm:[2,2,2,2] row_mask:0xf bank_mask:0xf// 0000000038AC: 0AF4F4FA FF00AAFA
	v_mul_f32_dpp v123, v250, v123 quad_perm:[3,3,3,3] row_mask:0xf bank_mask:0xf// 0000000038B4: 0AF6F6FA FF00FFFA
	v_mul_f32_dpp v124, v251, v124 quad_perm:[0,0,0,0] row_mask:0xf bank_mask:0xf// 0000000038BC: 0AF8F8FA FF0000FB
	v_mul_f32_dpp v125, v251, v125 quad_perm:[1,1,1,1] row_mask:0xf bank_mask:0xf// 0000000038C4: 0AFAFAFA FF0055FB
	v_mul_f32_dpp v126, v251, v126 quad_perm:[2,2,2,2] row_mask:0xf bank_mask:0xf// 0000000038CC: 0AFCFCFA FF00AAFB
	v_mul_f32_dpp v127, v251, v127 quad_perm:[3,3,3,3] row_mask:0xf bank_mask:0xf// 0000000038D4: 0AFEFEFA FF00FFFB
	buffer_load_dwordx4 a[20:23], v24, s[16:19], 0 offen offset:1024// 0000000038DC: E05C1400 80841418
	s_cmp_le_i32 s90, s89                                      // 0000000038E4: BF05595A
	s_cbranch_scc1 label_062C                                  // 0000000038E8: BF850071
	v_mov_b32_e32 v66, 0xff800000                              // 0000000038EC: 7E8402FF FF800000
	s_mov_b32 s60, s90                                         // 0000000038F4: BEBC005A
	s_add_u32 s61, s89, 0xff                                   // 0000000038F8: 803DFF59 000000FF
	v_mov_b32_e32 v64, s61                                     // 000000003900: 7E80023D
	v_lshrrev_b32_e32 v240, 4, v0                              // 000000003904: 21E00084
	v_mul_i32_i24_e32 v240, 4, v240                            // 000000003908: 0DE1E084
	v_add_u32_e32 v240, s60, v240                              // 00000000390C: 69E1E03C
	s_mov_b32 s61, 0                                           // 000000003910: BEBD0080
	s_mul_i32 s60, 16, s7                                      // 000000003914: 923C0790
	v_sub_u32_e64 v240, v240, s61                              // 000000003918: D13500F0 00007BF0
	v_add_u32_e32 v240, s60, v240                              // 000000003920: 69E1E03C
	v_add_u32_e32 v241, 1, v240                                // 000000003924: 69E3E081
	v_add_u32_e32 v242, 2, v240                                // 000000003928: 69E5E082
	v_add_u32_e32 v243, 3, v240                                // 00000000392C: 69E7E083
	v_cmp_le_u32_e64 s[40:41], v240, v64                       // 000000003930: D0CB0028 000281F0
	v_add_u32_e32 v240, 64, v240                               // 000000003938: 69E1E0C0
	s_nop 0                                                    // 00000000393C: BF800000
	v_cndmask_b32_e64 v112, v66, v112, s[40:41]                // 000000003940: D1000070 00A2E142
	v_cmp_le_u32_e64 s[40:41], v241, v64                       // 000000003948: D0CB0028 000281F1
	v_add_u32_e32 v241, 64, v241                               // 000000003950: 69E3E2C0
	s_nop 0                                                    // 000000003954: BF800000
	v_cndmask_b32_e64 v113, v66, v113, s[40:41]                // 000000003958: D1000071 00A2E342
	v_cmp_le_u32_e64 s[40:41], v242, v64                       // 000000003960: D0CB0028 000281F2
	v_add_u32_e32 v242, 64, v242                               // 000000003968: 69E5E4C0
	s_nop 0                                                    // 00000000396C: BF800000
	v_cndmask_b32_e64 v114, v66, v114, s[40:41]                // 000000003970: D1000072 00A2E542
	v_cmp_le_u32_e64 s[40:41], v243, v64                       // 000000003978: D0CB0028 000281F3
	v_add_u32_e32 v243, 64, v243                               // 000000003980: 69E7E6C0
	s_nop 0                                                    // 000000003984: BF800000
	v_cndmask_b32_e64 v115, v66, v115, s[40:41]                // 000000003988: D1000073 00A2E742
	v_cmp_le_u32_e64 s[40:41], v240, v64                       // 000000003990: D0CB0028 000281F0
	v_add_u32_e32 v240, 64, v240                               // 000000003998: 69E1E0C0
	s_nop 0                                                    // 00000000399C: BF800000
	v_cndmask_b32_e64 v116, v66, v116, s[40:41]                // 0000000039A0: D1000074 00A2E942
	v_cmp_le_u32_e64 s[40:41], v241, v64                       // 0000000039A8: D0CB0028 000281F1
	v_add_u32_e32 v241, 64, v241                               // 0000000039B0: 69E3E2C0
	s_nop 0                                                    // 0000000039B4: BF800000
	v_cndmask_b32_e64 v117, v66, v117, s[40:41]                // 0000000039B8: D1000075 00A2EB42
	v_cmp_le_u32_e64 s[40:41], v242, v64                       // 0000000039C0: D0CB0028 000281F2
	v_add_u32_e32 v242, 64, v242                               // 0000000039C8: 69E5E4C0
	s_nop 0                                                    // 0000000039CC: BF800000
	v_cndmask_b32_e64 v118, v66, v118, s[40:41]                // 0000000039D0: D1000076 00A2ED42
	v_cmp_le_u32_e64 s[40:41], v243, v64                       // 0000000039D8: D0CB0028 000281F3
	v_add_u32_e32 v243, 64, v243                               // 0000000039E0: 69E7E6C0
	s_nop 0                                                    // 0000000039E4: BF800000
	v_cndmask_b32_e64 v119, v66, v119, s[40:41]                // 0000000039E8: D1000077 00A2EF42
	v_cmp_le_u32_e64 s[40:41], v240, v64                       // 0000000039F0: D0CB0028 000281F0
	v_add_u32_e32 v240, 64, v240                               // 0000000039F8: 69E1E0C0
	s_nop 0                                                    // 0000000039FC: BF800000
	v_cndmask_b32_e64 v120, v66, v120, s[40:41]                // 000000003A00: D1000078 00A2F142
	v_cmp_le_u32_e64 s[40:41], v241, v64                       // 000000003A08: D0CB0028 000281F1
	v_add_u32_e32 v241, 64, v241                               // 000000003A10: 69E3E2C0
	s_nop 0                                                    // 000000003A14: BF800000
	v_cndmask_b32_e64 v121, v66, v121, s[40:41]                // 000000003A18: D1000079 00A2F342
	v_cmp_le_u32_e64 s[40:41], v242, v64                       // 000000003A20: D0CB0028 000281F2
	v_add_u32_e32 v242, 64, v242                               // 000000003A28: 69E5E4C0
	s_nop 0                                                    // 000000003A2C: BF800000
	v_cndmask_b32_e64 v122, v66, v122, s[40:41]                // 000000003A30: D100007A 00A2F542
	v_cmp_le_u32_e64 s[40:41], v243, v64                       // 000000003A38: D0CB0028 000281F3
	v_add_u32_e32 v243, 64, v243                               // 000000003A40: 69E7E6C0
	s_nop 0                                                    // 000000003A44: BF800000
	v_cndmask_b32_e64 v123, v66, v123, s[40:41]                // 000000003A48: D100007B 00A2F742
	v_cmp_le_u32_e64 s[40:41], v240, v64                       // 000000003A50: D0CB0028 000281F0
	v_add_u32_e32 v240, 64, v240                               // 000000003A58: 69E1E0C0
	s_nop 0                                                    // 000000003A5C: BF800000
	v_cndmask_b32_e64 v124, v66, v124, s[40:41]                // 000000003A60: D100007C 00A2F942
	v_cmp_le_u32_e64 s[40:41], v241, v64                       // 000000003A68: D0CB0028 000281F1
	v_add_u32_e32 v241, 64, v241                               // 000000003A70: 69E3E2C0
	s_nop 0                                                    // 000000003A74: BF800000
	v_cndmask_b32_e64 v125, v66, v125, s[40:41]                // 000000003A78: D100007D 00A2FB42
	v_cmp_le_u32_e64 s[40:41], v242, v64                       // 000000003A80: D0CB0028 000281F2
	v_add_u32_e32 v242, 64, v242                               // 000000003A88: 69E5E4C0
	s_nop 0                                                    // 000000003A8C: BF800000
	v_cndmask_b32_e64 v126, v66, v126, s[40:41]                // 000000003A90: D100007E 00A2FD42
	v_cmp_le_u32_e64 s[40:41], v243, v64                       // 000000003A98: D0CB0028 000281F3
	v_add_u32_e32 v243, 64, v243                               // 000000003AA0: 69E7E6C0
	s_nop 0                                                    // 000000003AA4: BF800000
	v_cndmask_b32_e64 v127, v66, v127, s[40:41]                // 000000003AA8: D100007F 00A2FF42

0000000000003ab0 <label_062C>:
	s_add_u32 s90, s91, s90                                    // 000000003AB0: 805A5A5B
	v_mov_b32_e32 v48, v112                                    // 000000003AB4: 7E600370
	v_max3_f32 v48, v112, v113, v48                            // 000000003AB8: D1D30030 04C2E370
	v_max3_f32 v48, v114, v115, v48                            // 000000003AC0: D1D30030 04C2E772
	v_max3_f32 v48, v116, v117, v48                            // 000000003AC8: D1D30030 04C2EB74
	v_max3_f32 v48, v118, v119, v48                            // 000000003AD0: D1D30030 04C2EF76
	v_max3_f32 v48, v120, v121, v48                            // 000000003AD8: D1D30030 04C2F378
	v_max3_f32 v48, v122, v123, v48                            // 000000003AE0: D1D30030 04C2F77A
	v_max3_f32 v48, v124, v125, v48                            // 000000003AE8: D1D30030 04C2FB7C
	v_max3_f32 v48, v126, v127, v48                            // 000000003AF0: D1D30030 04C2FF7E
	ds_write_b32 v8, v48 offset:16896                          // 000000003AF8: D81A4200 00003008
	buffer_load_dwordx4 a[24:27], v25, s[16:19], 0 offen       // 000000003B00: E05C1000 80841819
	v_mul_u32_u24_dpp v64, v16, v54 row_newbcast:1 row_mask:0xf bank_mask:0xf// 000000003B08: 10806CFA FF015110
	v_mul_u32_u24_dpp v65, v16, v54 row_newbcast:5 row_mask:0xf bank_mask:0xf// 000000003B10: 10826CFA FF015510
	v_mul_u32_u24_dpp v66, v16, v54 row_newbcast:9 row_mask:0xf bank_mask:0xf// 000000003B18: 10846CFA FF015910
	v_mul_u32_u24_dpp v67, v16, v54 row_newbcast:13 row_mask:0xf bank_mask:0xf// 000000003B20: 10866CFA FF015D10
	v_add_u32_e32 v30, v64, v6                                 // 000000003B28: 683C0D40
	v_add_u32_e32 v31, v65, v6                                 // 000000003B2C: 683E0D41
	v_add_u32_e32 v32, v66, v6                                 // 000000003B30: 68400D42
	v_add_u32_e32 v33, v67, v6                                 // 000000003B34: 68420D43
	v_mul_f32_e32 v208, v49, v208                              // 000000003B38: 0BA1A131
	v_mul_f32_e32 v209, v49, v209                              // 000000003B3C: 0BA3A331
	v_mul_f32_e32 v210, v49, v210                              // 000000003B40: 0BA5A531
	v_mul_f32_e32 v211, v49, v211                              // 000000003B44: 0BA7A731
	v_mul_f32_e32 v212, v49, v212                              // 000000003B48: 0BA9A931
	v_mul_f32_e32 v213, v49, v213                              // 000000003B4C: 0BABAB31
	v_mul_f32_e32 v214, v49, v214                              // 000000003B50: 0BADAD31
	v_mul_f32_e32 v215, v49, v215                              // 000000003B54: 0BAFAF31
	s_waitcnt lgkmcnt(0)                                       // 000000003B58: BF8CC07F
	s_barrier                                                  // 000000003B5C: BF8A0000
	ds_read_b32 v64, v7 offset:16896                           // 000000003B60: D86C4200 40000007
	ds_read_b32 v65, v7 offset:16960                           // 000000003B68: D86C4240 41000007
	ds_read_b32 v66, v7 offset:17024                           // 000000003B70: D86C4280 42000007
	ds_read_b32 v67, v7 offset:17088                           // 000000003B78: D86C42C0 43000007
	ds_read_b32 v68, v7 offset:17152                           // 000000003B80: D86C4300 44000007
	ds_read_b32 v69, v7 offset:17216                           // 000000003B88: D86C4340 45000007
	ds_read_b32 v70, v7 offset:17280                           // 000000003B90: D86C4380 46000007
	ds_read_b32 v71, v7 offset:17344                           // 000000003B98: D86C43C0 47000007
	ds_read_b32 v72, v7 offset:17408                           // 000000003BA0: D86C4400 48000007
	ds_read_b32 v73, v7 offset:17472                           // 000000003BA8: D86C4440 49000007
	ds_read_b32 v74, v7 offset:17536                           // 000000003BB0: D86C4480 4A000007
	ds_read_b32 v75, v7 offset:17600                           // 000000003BB8: D86C44C0 4B000007
	ds_read_b32 v76, v7 offset:17664                           // 000000003BC0: D86C4500 4C000007
	ds_read_b32 v77, v7 offset:17728                           // 000000003BC8: D86C4540 4D000007
	ds_read_b32 v78, v7 offset:17792                           // 000000003BD0: D86C4580 4E000007
	ds_read_b32 v79, v7 offset:17856                           // 000000003BD8: D86C45C0 4F000007
	buffer_load_dwordx4 a[28:31], v25, s[16:19], 0 offen offset:1024// 000000003BE0: E05C1400 80841C19
	v_cvt_f32_i32_e32 v176, v176                               // 000000003BE8: 7F600BB0
	v_cvt_f32_i32_e32 v177, v177                               // 000000003BEC: 7F620BB1
	v_cvt_f32_i32_e32 v178, v178                               // 000000003BF0: 7F640BB2
	v_cvt_f32_i32_e32 v179, v179                               // 000000003BF4: 7F660BB3
	v_cvt_f32_i32_e32 v180, v180                               // 000000003BF8: 7F680BB4
	v_cvt_f32_i32_e32 v181, v181                               // 000000003BFC: 7F6A0BB5
	v_cvt_f32_i32_e32 v182, v182                               // 000000003C00: 7F6C0BB6
	v_cvt_f32_i32_e32 v183, v183                               // 000000003C04: 7F6E0BB7
	v_mul_f32_e32 v176, v44, v176                              // 000000003C08: 0B61612C
	v_mul_f32_e32 v177, v44, v177                              // 000000003C0C: 0B63632C
	v_mul_f32_e32 v178, v44, v178                              // 000000003C10: 0B65652C
	v_mul_f32_e32 v179, v44, v179                              // 000000003C14: 0B67672C
	v_mul_f32_e32 v180, v44, v180                              // 000000003C18: 0B69692C
	v_mul_f32_e32 v181, v44, v181                              // 000000003C1C: 0B6B6B2C
	v_mul_f32_e32 v182, v44, v182                              // 000000003C20: 0B6D6D2C
	v_mul_f32_e32 v183, v44, v183                              // 000000003C24: 0B6F6F2C
	s_waitcnt lgkmcnt(0)                                       // 000000003C28: BF8CC07F
	v_max3_f32 v48, v64, v65, v48                              // 000000003C2C: D1D30030 04C28340
	v_max3_f32 v48, v66, v67, v48                              // 000000003C34: D1D30030 04C28742
	v_max3_f32 v48, v68, v69, v48                              // 000000003C3C: D1D30030 04C28B44
	v_max3_f32 v48, v70, v71, v48                              // 000000003C44: D1D30030 04C28F46
	v_max3_f32 v48, v72, v73, v48                              // 000000003C4C: D1D30030 04C29348
	v_max3_f32 v48, v74, v75, v48                              // 000000003C54: D1D30030 04C2974A
	v_max3_f32 v48, v76, v77, v48                              // 000000003C5C: D1D30030 04C29B4C
	v_max3_f32 v48, v78, v79, v48                              // 000000003C64: D1D30030 04C29F4E
	buffer_load_dwordx4 a[64:67], v30, s[20:23], 0 offen       // 000000003C6C: E05C1000 8085401E
	v_mov_b32_e32 v64, 0xff800000                              // 000000003C74: 7E8002FF FF800000
	v_cmp_eq_u32_e64 s[40:41], v64, v11                        // 000000003C7C: D0CA0028 00021740
	s_nop 1                                                    // 000000003C84: BF800001
	v_max_f32_e32 v15, v48, v11                                // 000000003C88: 161E1730
	v_mul_f32_e32 v53, s64, v15                                // 000000003C8C: 0A6A1E40
	v_fma_f32 v112, v112, s64, -v53                            // 000000003C90: D1CB0070 84D48170
	v_fma_f32 v113, v113, s64, -v53                            // 000000003C98: D1CB0071 84D48171
	v_fma_f32 v114, v114, s64, -v53                            // 000000003CA0: D1CB0072 84D48172
	v_fma_f32 v115, v115, s64, -v53                            // 000000003CA8: D1CB0073 84D48173
	v_fma_f32 v116, v116, s64, -v53                            // 000000003CB0: D1CB0074 84D48174
	v_fma_f32 v117, v117, s64, -v53                            // 000000003CB8: D1CB0075 84D48175
	v_fma_f32 v118, v118, s64, -v53                            // 000000003CC0: D1CB0076 84D48176
	v_fma_f32 v119, v119, s64, -v53                            // 000000003CC8: D1CB0077 84D48177
	v_fma_f32 v120, v120, s64, -v53                            // 000000003CD0: D1CB0078 84D48178
	v_fma_f32 v121, v121, s64, -v53                            // 000000003CD8: D1CB0079 84D48179
	v_fma_f32 v122, v122, s64, -v53                            // 000000003CE0: D1CB007A 84D4817A
	v_fma_f32 v123, v123, s64, -v53                            // 000000003CE8: D1CB007B 84D4817B
	v_fma_f32 v124, v124, s64, -v53                            // 000000003CF0: D1CB007C 84D4817C
	v_fma_f32 v125, v125, s64, -v53                            // 000000003CF8: D1CB007D 84D4817D
	v_fma_f32 v126, v126, s64, -v53                            // 000000003D00: D1CB007E 84D4817E
	v_fma_f32 v127, v127, s64, -v53                            // 000000003D08: D1CB007F 84D4817F
	buffer_load_dwordx4 a[68:71], v31, s[20:23], 0 offen       // 000000003D10: E05C1000 8085441F
	v_exp_f32_e32 v112, v112                                   // 000000003D18: 7EE04170
	v_exp_f32_e32 v113, v113                                   // 000000003D1C: 7EE24171
	v_exp_f32_e32 v114, v114                                   // 000000003D20: 7EE44172
	v_exp_f32_e32 v115, v115                                   // 000000003D24: 7EE64173
	v_exp_f32_e32 v116, v116                                   // 000000003D28: 7EE84174
	v_exp_f32_e32 v117, v117                                   // 000000003D2C: 7EEA4175
	v_exp_f32_e32 v118, v118                                   // 000000003D30: 7EEC4176
	v_exp_f32_e32 v119, v119                                   // 000000003D34: 7EEE4177
	v_exp_f32_e32 v120, v120                                   // 000000003D38: 7EF04178
	v_exp_f32_e32 v121, v121                                   // 000000003D3C: 7EF24179
	v_exp_f32_e32 v122, v122                                   // 000000003D40: 7EF4417A
	v_exp_f32_e32 v123, v123                                   // 000000003D44: 7EF6417B
	v_exp_f32_e32 v124, v124                                   // 000000003D48: 7EF8417C
	v_exp_f32_e32 v125, v125                                   // 000000003D4C: 7EFA417D
	v_exp_f32_e32 v126, v126                                   // 000000003D50: 7EFC417E
	v_exp_f32_e32 v127, v127                                   // 000000003D54: 7EFE417F
	buffer_load_dwordx4 a[72:75], v32, s[20:23], 0 offen       // 000000003D58: E05C1000 80854820
	v_mul_f32_dpp v240, v252, v112 quad_perm:[0,0,0,0] row_mask:0xf bank_mask:0xf// 000000003D60: 0BE0E0FA FF0000FC
	v_mul_f32_dpp v241, v252, v113 quad_perm:[1,1,1,1] row_mask:0xf bank_mask:0xf// 000000003D68: 0BE2E2FA FF0055FC
	v_mul_f32_dpp v242, v252, v114 quad_perm:[2,2,2,2] row_mask:0xf bank_mask:0xf// 000000003D70: 0BE4E4FA FF00AAFC
	v_mul_f32_dpp v243, v252, v115 quad_perm:[3,3,3,3] row_mask:0xf bank_mask:0xf// 000000003D78: 0BE6E6FA FF00FFFC
	v_mul_f32_dpp v244, v253, v116 quad_perm:[0,0,0,0] row_mask:0xf bank_mask:0xf// 000000003D80: 0BE8E8FA FF0000FD
	v_mul_f32_dpp v245, v253, v117 quad_perm:[1,1,1,1] row_mask:0xf bank_mask:0xf// 000000003D88: 0BEAEAFA FF0055FD
	v_mul_f32_dpp v246, v253, v118 quad_perm:[2,2,2,2] row_mask:0xf bank_mask:0xf// 000000003D90: 0BECECFA FF00AAFD
	v_mul_f32_dpp v247, v253, v119 quad_perm:[3,3,3,3] row_mask:0xf bank_mask:0xf// 000000003D98: 0BEEEEFA FF00FFFD
	v_mul_f32_dpp v248, v254, v120 quad_perm:[0,0,0,0] row_mask:0xf bank_mask:0xf// 000000003DA0: 0BF0F0FA FF0000FE
	v_mul_f32_dpp v249, v254, v121 quad_perm:[1,1,1,1] row_mask:0xf bank_mask:0xf// 000000003DA8: 0BF2F2FA FF0055FE
	v_mul_f32_dpp v250, v254, v122 quad_perm:[2,2,2,2] row_mask:0xf bank_mask:0xf// 000000003DB0: 0BF4F4FA FF00AAFE
	v_mul_f32_dpp v251, v254, v123 quad_perm:[3,3,3,3] row_mask:0xf bank_mask:0xf// 000000003DB8: 0BF6F6FA FF00FFFE
	v_mul_f32_dpp v252, v255, v124 quad_perm:[0,0,0,0] row_mask:0xf bank_mask:0xf// 000000003DC0: 0BF8F8FA FF0000FF
	v_mul_f32_dpp v253, v255, v125 quad_perm:[1,1,1,1] row_mask:0xf bank_mask:0xf// 000000003DC8: 0BFAFAFA FF0055FF
	v_mul_f32_dpp v254, v255, v126 quad_perm:[2,2,2,2] row_mask:0xf bank_mask:0xf// 000000003DD0: 0BFCFCFA FF00AAFF
	v_mul_f32_dpp v255, v255, v127 quad_perm:[3,3,3,3] row_mask:0xf bank_mask:0xf// 000000003DD8: 0BFEFEFA FF00FFFF
	v_mov_b32_e32 v48, 0x358637bd                              // 000000003DE0: 7E6002FF 358637BD
	v_max3_f32 v48, |v240|, |v241|, v48                        // 000000003DE8: D1D30330 04C3E3F0
	v_max3_f32 v48, |v242|, |v243|, v48                        // 000000003DF0: D1D30330 04C3E7F2
	v_max3_f32 v48, |v244|, |v245|, v48                        // 000000003DF8: D1D30330 04C3EBF4
	v_max3_f32 v48, |v246|, |v247|, v48                        // 000000003E00: D1D30330 04C3EFF6
	v_max3_f32 v48, |v248|, |v249|, v48                        // 000000003E08: D1D30330 04C3F3F8
	v_max3_f32 v48, |v250|, |v251|, v48                        // 000000003E10: D1D30330 04C3F7FA
	v_max3_f32 v48, |v252|, |v253|, v48                        // 000000003E18: D1D30330 04C3FBFC
	v_max3_f32 v48, |v254|, |v255|, v48                        // 000000003E20: D1D30330 04C3FFFE
	buffer_load_dwordx4 a[76:79], v33, s[20:23], 0 offen       // 000000003E28: E05C1000 80854C21
	ds_write_b32 v8, v48 offset:20992                          // 000000003E30: D81A5200 00003008
	v_sub_f32_e32 v49, v11, v15                                // 000000003E38: 04621F0B
	v_cndmask_b32_e64 v49, v49, 0, s[40:41]                    // 000000003E3C: D1000031 00A10131
	v_mov_b32_e32 v11, v15                                     // 000000003E44: 7E16030F
	v_mul_f32_e32 v49, s64, v49                                // 000000003E48: 0A626240
	v_exp_f32_e32 v49, v49                                     // 000000003E4C: 7E624131
	s_waitcnt lgkmcnt(0)                                       // 000000003E50: BF8CC07F
	s_barrier                                                  // 000000003E54: BF8A0000
	ds_read_b32 v64, v7 offset:20992                           // 000000003E58: D86C5200 40000007
	ds_read_b32 v65, v7 offset:21056                           // 000000003E60: D86C5240 41000007
	ds_read_b32 v66, v7 offset:21120                           // 000000003E68: D86C5280 42000007
	ds_read_b32 v67, v7 offset:21184                           // 000000003E70: D86C52C0 43000007
	ds_read_b32 v68, v7 offset:21248                           // 000000003E78: D86C5300 44000007
	ds_read_b32 v69, v7 offset:21312                           // 000000003E80: D86C5340 45000007
	ds_read_b32 v70, v7 offset:21376                           // 000000003E88: D86C5380 46000007
	ds_read_b32 v71, v7 offset:21440                           // 000000003E90: D86C53C0 47000007
	ds_read_b32 v72, v7 offset:21504                           // 000000003E98: D86C5400 48000007
	ds_read_b32 v73, v7 offset:21568                           // 000000003EA0: D86C5440 49000007
	ds_read_b32 v74, v7 offset:21632                           // 000000003EA8: D86C5480 4A000007
	ds_read_b32 v75, v7 offset:21696                           // 000000003EB0: D86C54C0 4B000007
	ds_read_b32 v76, v7 offset:21760                           // 000000003EB8: D86C5500 4C000007
	ds_read_b32 v77, v7 offset:21824                           // 000000003EC0: D86C5540 4D000007
	ds_read_b32 v78, v7 offset:21888                           // 000000003EC8: D86C5580 4E000007
	ds_read_b32 v79, v7 offset:21952                           // 000000003ED0: D86C55C0 4F000007
	v_mul_f32_e32 v38, v49, v38                                // 000000003ED8: 0A4C4D31
	v_mov_b32_e32 v15, v112                                    // 000000003EDC: 7E1E0370
	v_add_f32_e32 v15, v113, v15                               // 000000003EE0: 021E1F71
	v_add_f32_e32 v15, v114, v15                               // 000000003EE4: 021E1F72
	v_add_f32_e32 v15, v115, v15                               // 000000003EE8: 021E1F73
	v_add_f32_e32 v15, v116, v15                               // 000000003EEC: 021E1F74
	v_add_f32_e32 v15, v117, v15                               // 000000003EF0: 021E1F75
	v_add_f32_e32 v15, v118, v15                               // 000000003EF4: 021E1F76
	v_add_f32_e32 v15, v119, v15                               // 000000003EF8: 021E1F77
	v_add_f32_e32 v15, v120, v15                               // 000000003EFC: 021E1F78
	v_add_f32_e32 v15, v121, v15                               // 000000003F00: 021E1F79
	v_add_f32_e32 v15, v122, v15                               // 000000003F04: 021E1F7A
	v_add_f32_e32 v15, v123, v15                               // 000000003F08: 021E1F7B
	v_add_f32_e32 v15, v124, v15                               // 000000003F0C: 021E1F7C
	v_add_f32_e32 v15, v125, v15                               // 000000003F10: 021E1F7D
	v_add_f32_e32 v15, v126, v15                               // 000000003F14: 021E1F7E
	v_add_f32_e32 v15, v127, v15                               // 000000003F18: 021E1F7F
	v_add_f32_e32 v38, v15, v38                                // 000000003F1C: 024C4D0F
	s_waitcnt lgkmcnt(0)                                       // 000000003F20: BF8CC07F
	v_max3_f32 v48, |v64|, |v65|, v48                          // 000000003F24: D1D30330 04C28340
	v_max3_f32 v48, |v66|, |v67|, v48                          // 000000003F2C: D1D30330 04C28742
	v_max3_f32 v48, |v68|, |v69|, v48                          // 000000003F34: D1D30330 04C28B44
	v_max3_f32 v48, |v70|, |v71|, v48                          // 000000003F3C: D1D30330 04C28F46
	v_max3_f32 v48, |v72|, |v73|, v48                          // 000000003F44: D1D30330 04C29348
	v_max3_f32 v48, |v74|, |v75|, v48                          // 000000003F4C: D1D30330 04C2974A
	v_max3_f32 v48, |v76|, |v77|, v48                          // 000000003F54: D1D30330 04C29B4C
	v_max3_f32 v48, |v78|, |v79|, v48                          // 000000003F5C: D1D30330 04C29F4E
	s_nop 2                                                    // 000000003F64: BF800002
	v_rcp_f32_e32 v48, v48                                     // 000000003F68: 7E604530
	s_nop 1                                                    // 000000003F6C: BF800001
	v_mul_f32_e32 v48, 0x42fe0000, v48                         // 000000003F70: 0A6060FF 42FE0000
	v_mul_f32_e32 v112, v48, v240                              // 000000003F78: 0AE1E130
	v_mul_f32_e32 v113, v48, v241                              // 000000003F7C: 0AE3E330
	v_mul_f32_e32 v114, v48, v242                              // 000000003F80: 0AE5E530
	v_mul_f32_e32 v115, v48, v243                              // 000000003F84: 0AE7E730
	v_mul_f32_e32 v116, v48, v244                              // 000000003F88: 0AE9E930
	v_mul_f32_e32 v117, v48, v245                              // 000000003F8C: 0AEBEB30
	v_mul_f32_e32 v118, v48, v246                              // 000000003F90: 0AEDED30
	v_mul_f32_e32 v119, v48, v247                              // 000000003F94: 0AEFEF30
	v_mul_f32_e32 v120, v48, v248                              // 000000003F98: 0AF1F130
	v_mul_f32_e32 v121, v48, v249                              // 000000003F9C: 0AF3F330
	v_mul_f32_e32 v122, v48, v250                              // 000000003FA0: 0AF5F530
	v_mul_f32_e32 v123, v48, v251                              // 000000003FA4: 0AF7F730
	v_mul_f32_e32 v124, v48, v252                              // 000000003FA8: 0AF9F930
	v_mul_f32_e32 v125, v48, v253                              // 000000003FAC: 0AFBFB30
	v_mul_f32_e32 v126, v48, v254                              // 000000003FB0: 0AFDFD30
	v_mul_f32_e32 v127, v48, v255                              // 000000003FB4: 0AFFFF30
	v_cvt_i32_f32_e32 v112, v112                               // 000000003FB8: 7EE01170
	v_cvt_i32_f32_e32 v113, v113                               // 000000003FBC: 7EE21171
	v_cvt_i32_f32_e32 v114, v114                               // 000000003FC0: 7EE41172
	v_cvt_i32_f32_e32 v115, v115                               // 000000003FC4: 7EE61173
	v_cvt_i32_f32_e32 v116, v116                               // 000000003FC8: 7EE81174
	v_cvt_i32_f32_e32 v117, v117                               // 000000003FCC: 7EEA1175
	v_cvt_i32_f32_e32 v118, v118                               // 000000003FD0: 7EEC1176
	v_cvt_i32_f32_e32 v119, v119                               // 000000003FD4: 7EEE1177
	v_cvt_i32_f32_e32 v120, v120                               // 000000003FD8: 7EF01178
	v_cvt_i32_f32_e32 v121, v121                               // 000000003FDC: 7EF21179
	v_cvt_i32_f32_e32 v122, v122                               // 000000003FE0: 7EF4117A
	v_cvt_i32_f32_e32 v123, v123                               // 000000003FE4: 7EF6117B
	v_cvt_i32_f32_e32 v124, v124                               // 000000003FE8: 7EF8117C
	v_cvt_i32_f32_e32 v125, v125                               // 000000003FEC: 7EFA117D
	v_cvt_i32_f32_e32 v126, v126                               // 000000003FF0: 7EFC117E
	v_cvt_i32_f32_e32 v127, v127                               // 000000003FF4: 7EFE117F
	v_perm_b32 v112, v113, v112, s53                           // 000000003FF8: D1ED0070 00D6E171
	v_perm_b32 v112, v114, v112, s54                           // 000000004000: D1ED0070 00DAE172
	v_perm_b32 v112, v115, v112, s55                           // 000000004008: D1ED0070 00DEE173
	v_perm_b32 v113, v117, v116, s53                           // 000000004010: D1ED0071 00D6E975
	v_perm_b32 v113, v118, v113, s54                           // 000000004018: D1ED0071 00DAE376
	v_perm_b32 v113, v119, v113, s55                           // 000000004020: D1ED0071 00DEE377
	v_perm_b32 v114, v121, v120, s53                           // 000000004028: D1ED0072 00D6F179
	v_perm_b32 v114, v122, v114, s54                           // 000000004030: D1ED0072 00DAE57A
	v_perm_b32 v114, v123, v114, s55                           // 000000004038: D1ED0072 00DEE57B
	v_perm_b32 v115, v125, v124, s53                           // 000000004040: D1ED0073 00D6F97D
	v_perm_b32 v115, v126, v115, s54                           // 000000004048: D1ED0073 00DAE77E
	v_perm_b32 v115, v127, v115, s55                           // 000000004050: D1ED0073 00DEE77F
	ds_write_b32 v10, v112 offset:25088                        // 000000004058: D81A6200 0000700A
	ds_write_b32 v10, v113 offset:26112                        // 000000004060: D81A6600 0000710A
	ds_write_b32 v10, v114 offset:27136                        // 000000004068: D81A6A00 0000720A
	ds_write_b32 v10, v115 offset:28160                        // 000000004070: D81A6E00 0000730A
	v_add_f32_e32 v208, v208, v176                             // 000000004078: 03A161D0
	v_add_f32_e32 v209, v209, v177                             // 00000000407C: 03A363D1
	v_add_f32_e32 v210, v210, v178                             // 000000004080: 03A565D2
	v_add_f32_e32 v211, v211, v179                             // 000000004084: 03A767D3
	v_add_f32_e32 v212, v212, v180                             // 000000004088: 03A969D4
	v_add_f32_e32 v213, v213, v181                             // 00000000408C: 03AB6BD5
	v_add_f32_e32 v214, v214, v182                             // 000000004090: 03AD6DD6
	v_add_f32_e32 v215, v215, v183                             // 000000004094: 03AF6FD7
	v_rcp_f32_e32 v44, v48                                     // 000000004098: 7E584530
	s_waitcnt lgkmcnt(0)                                       // 00000000409C: BF8CC07F
	s_barrier                                                  // 0000000040A0: BF8A0000
	ds_read_b64 v[112:113], v9 offset:25088                    // 0000000040A4: D8EC6200 70000009
	ds_read_b64 v[114:115], v9 offset:25216                    // 0000000040AC: D8EC6280 72000009
	ds_read_b64 v[116:117], v9 offset:26112                    // 0000000040B4: D8EC6600 74000009
	ds_read_b64 v[118:119], v9 offset:26240                    // 0000000040BC: D8EC6680 76000009
	ds_read_b64 v[120:121], v9 offset:27136                    // 0000000040C4: D8EC6A00 78000009
	ds_read_b64 v[122:123], v9 offset:27264                    // 0000000040CC: D8EC6A80 7A000009
	ds_read_b64 v[124:125], v9 offset:28160                    // 0000000040D4: D8EC6E00 7C000009
	ds_read_b64 v[126:127], v9 offset:28288                    // 0000000040DC: D8EC6E80 7E000009
	s_waitcnt vmcnt(15)                                        // 0000000040E4: BF8C0F7F
	s_waitcnt lgkmcnt(7)                                       // 0000000040E8: BF8CC77F
	v_mfma_i32_16x16x32_i8 v[176:179], a[96:97], v[112:113], 0 // 0000000040EC: D3D700B0 0A02E160
	s_waitcnt lgkmcnt(6)                                       // 0000000040F4: BF8CC67F
	v_mfma_i32_16x16x32_i8 v[176:179], a[98:99], v[114:115], v[176:179]// 0000000040F8: D3D700B0 0EC2E562
	buffer_load_dwordx4 a[80:83], v30, s[20:23], 0 offen offset:1024// 000000004100: E05C1400 8085501E
	s_waitcnt lgkmcnt(5)                                       // 000000004108: BF8CC57F
	v_mfma_i32_16x16x32_i8 v[176:179], a[100:101], v[116:117], v[176:179]// 00000000410C: D3D700B0 0EC2E964
	s_waitcnt lgkmcnt(4)                                       // 000000004114: BF8CC47F
	v_mfma_i32_16x16x32_i8 v[176:179], a[102:103], v[118:119], v[176:179]// 000000004118: D3D700B0 0EC2ED66
	s_waitcnt lgkmcnt(3)                                       // 000000004120: BF8CC37F
	v_mfma_i32_16x16x32_i8 v[176:179], a[104:105], v[120:121], v[176:179]// 000000004124: D3D700B0 0EC2F168
	s_waitcnt lgkmcnt(2)                                       // 00000000412C: BF8CC27F
	v_mfma_i32_16x16x32_i8 v[176:179], a[106:107], v[122:123], v[176:179]// 000000004130: D3D700B0 0EC2F56A
	buffer_load_dwordx4 a[84:87], v31, s[20:23], 0 offen offset:1024// 000000004138: E05C1400 8085541F
	s_waitcnt lgkmcnt(1)                                       // 000000004140: BF8CC17F
	v_mfma_i32_16x16x32_i8 v[176:179], a[108:109], v[124:125], v[176:179]// 000000004144: D3D700B0 0EC2F96C
	s_waitcnt lgkmcnt(0)                                       // 00000000414C: BF8CC07F
	v_mfma_i32_16x16x32_i8 v[176:179], a[110:111], v[126:127], v[176:179]// 000000004150: D3D700B0 0EC2FD6E
	v_mfma_i32_16x16x32_i8 v[180:183], a[112:113], v[112:113], 0// 000000004158: D3D700B4 0A02E170
	v_mfma_i32_16x16x32_i8 v[180:183], a[114:115], v[114:115], v[180:183]// 000000004160: D3D700B4 0ED2E572
	buffer_load_dwordx4 a[88:91], v32, s[20:23], 0 offen offset:1024// 000000004168: E05C1400 80855820
	v_mfma_i32_16x16x32_i8 v[180:183], a[116:117], v[116:117], v[180:183]// 000000004170: D3D700B4 0ED2E974
	v_mfma_i32_16x16x32_i8 v[180:183], a[118:119], v[118:119], v[180:183]// 000000004178: D3D700B4 0ED2ED76
	v_mfma_i32_16x16x32_i8 v[180:183], a[120:121], v[120:121], v[180:183]// 000000004180: D3D700B4 0ED2F178
	v_mfma_i32_16x16x32_i8 v[180:183], a[122:123], v[122:123], v[180:183]// 000000004188: D3D700B4 0ED2F57A
	buffer_load_dwordx4 a[92:95], v33, s[20:23], 0 offen offset:1024// 000000004190: E05C1400 80855C21
	v_mfma_i32_16x16x32_i8 v[180:183], a[124:125], v[124:125], v[180:183]// 000000004198: D3D700B4 0ED2F97C
	s_lshr_b32 s57, s70, 4                                     // 0000000041A0: 8F398446
	s_add_u32 s57, 48, s57                                     // 0000000041A4: 803939B0
	v_mfma_i32_16x16x32_i8 v[180:183], a[126:127], v[126:127], v[180:183]// 0000000041A8: D3D700B4 0ED2FD7E
	s_cmp_ge_u32 s57, s73                                      // 0000000041B0: BF094939
	s_cselect_b32 s56, 0, s56                                  // 0000000041B4: 85383880
	v_add_u32_e32 v1, s56, v1                                  // 0000000041B8: 68020238
	s_addk_i32 s70, 0x100                                      // 0000000041BC: B7460100
	s_cmp_lt_i32 s70, s71                                      // 0000000041C0: BF044746
	s_cbranch_scc0 label_07F3                                  // 0000000041C4: BF840001
	s_branch label_020E                                        // 0000000041C8: BF82FA1B

00000000000041cc <label_07F3>:
	s_nop 0                                                    // 0000000041CC: BF800000
	s_nop 0                                                    // 0000000041D0: BF800000
	s_branch label_0DDB                                        // 0000000041D4: BF8205E5

00000000000041d8 <label_07F6>:
	s_waitcnt vmcnt(8) lgkmcnt(0)                              // 0000000041D8: BF8C0078
	v_mul_u32_u24_dpp v64, v17, v54 row_newbcast:0 row_mask:0xf bank_mask:0xf// 0000000041DC: 10806CFA FF015011
	v_mul_u32_u24_dpp v65, v17, v54 row_newbcast:4 row_mask:0xf bank_mask:0xf// 0000000041E4: 10826CFA FF015411
	v_mul_u32_u24_dpp v66, v17, v54 row_newbcast:8 row_mask:0xf bank_mask:0xf// 0000000041EC: 10846CFA FF015811
	v_mul_u32_u24_dpp v67, v17, v54 row_newbcast:12 row_mask:0xf bank_mask:0xf// 0000000041F4: 10866CFA FF015C11
	v_add_u32_e32 v26, v64, v5                                 // 0000000041FC: 68340B40
	v_add_u32_e32 v27, v65, v5                                 // 000000004200: 68360B41
	v_add_u32_e32 v28, v66, v5                                 // 000000004204: 68380B42
	v_add_u32_e32 v29, v67, v5                                 // 000000004208: 683A0B43
	v_mul_u32_u24_dpp v64, v17, v63 quad_perm:[0,0,0,0] row_mask:0xf bank_mask:0xf// 00000000420C: 10807EFA FF000011
	v_add_u32_e32 v3, v64, v59                                 // 000000004214: 68067740
	v_mul_u32_u24_dpp v64, v17, v63 quad_perm:[0,0,0,0] row_mask:0xf bank_mask:0xf// 000000004218: 10807EFA FF000011
	v_add_u32_e32 v56, v64, v60                                // 000000004220: 68707940
	v_mfma_i32_16x16x32_i8 v[112:115], a[0:1], v[80:81], 0     // 000000004224: D3D70070 0A02A100
	buffer_load_dwordx4 a[32:35], v26, s[16:19], 0 offen       // 00000000422C: E05C1000 8084201A
	v_mfma_i32_16x16x32_i8 v[112:115], a[2:3], v[82:83], v[112:115]// 000000004234: D3D70070 0DC2A502
	v_mfma_i32_16x16x32_i8 v[112:115], a[4:5], v[84:85], v[112:115]// 00000000423C: D3D70070 0DC2A904
	buffer_load_dword v16, v1, s[24:27], 0 offen               // 000000004244: E0501000 80061001
	v_mfma_i32_16x16x32_i8 v[112:115], a[6:7], v[86:87], v[112:115]// 00000000424C: D3D70070 0DC2AD06
	v_mfma_i32_16x16x32_i8 v[116:119], a[8:9], v[80:81], 0     // 000000004254: D3D70074 0A02A108
	buffer_load_dwordx4 a[36:39], v26, s[16:19], 0 offen offset:1024// 00000000425C: E05C1400 8084241A
	v_mfma_i32_16x16x32_i8 v[116:119], a[10:11], v[82:83], v[116:119]// 000000004264: D3D70074 0DD2A50A
	v_mfma_i32_16x16x32_i8 v[116:119], a[12:13], v[84:85], v[116:119]// 00000000426C: D3D70074 0DD2A90C
	v_mfma_i32_16x16x32_i8 v[116:119], a[14:15], v[86:87], v[116:119]// 000000004274: D3D70074 0DD2AD0E
	v_mfma_i32_16x16x32_i8 v[120:123], a[16:17], v[80:81], 0   // 00000000427C: D3D70078 0A02A110
	buffer_load_dwordx4 a[40:43], v27, s[16:19], 0 offen       // 000000004284: E05C1000 8084281B
	v_mfma_i32_16x16x32_i8 v[120:123], a[18:19], v[82:83], v[120:123]// 00000000428C: D3D70078 0DE2A512
	v_mfma_i32_16x16x32_i8 v[120:123], a[20:21], v[84:85], v[120:123]// 000000004294: D3D70078 0DE2A914
	v_mfma_i32_16x16x32_i8 v[120:123], a[22:23], v[86:87], v[120:123]// 00000000429C: D3D70078 0DE2AD16
	v_mfma_i32_16x16x32_i8 v[124:127], a[24:25], v[80:81], 0   // 0000000042A4: D3D7007C 0A02A118
	buffer_load_dwordx4 a[44:47], v27, s[16:19], 0 offen offset:1024// 0000000042AC: E05C1400 80842C1B
	v_mfma_i32_16x16x32_i8 v[124:127], a[26:27], v[82:83], v[124:127]// 0000000042B4: D3D7007C 0DF2A51A
	v_mfma_i32_16x16x32_i8 v[124:127], a[28:29], v[84:85], v[124:127]// 0000000042BC: D3D7007C 0DF2A91C
	v_mfma_i32_16x16x32_i8 v[124:127], a[30:31], v[86:87], v[124:127]// 0000000042C4: D3D7007C 0DF2AD1E
	buffer_load_dword v43, v3, s[32:35], 0 offen               // 0000000042CC: E0501000 80082B03
	v_mov_b32_dpp v64, v42 row_shr:4 row_mask:0xf bank_mask:0xf// 0000000042D4: 7E8002FA FF01142A
	v_mov_b32_dpp v65, v42 row_shl:4 row_mask:0xf bank_mask:0xf// 0000000042DC: 7E8202FA FF01042A
	v_cndmask_b32_e64 v248, v42, v64, s[44:45]                 // 0000000042E4: D10000F8 00B2812A
	v_cndmask_b32_e64 v249, v65, v42, s[44:45]                 // 0000000042EC: D10000F9 00B25541
	v_mov_b32_dpp v64, v248 row_shr:8 row_mask:0xf bank_mask:0xf// 0000000042F4: 7E8002FA FF0118F8
	v_mov_b32_dpp v65, v248 row_shl:8 row_mask:0xf bank_mask:0xf// 0000000042FC: 7E8202FA FF0108F8
	v_mov_b32_dpp v66, v249 row_shr:8 row_mask:0xf bank_mask:0xf// 000000004304: 7E8402FA FF0118F9
	v_mov_b32_dpp v67, v249 row_shl:8 row_mask:0xf bank_mask:0xf// 00000000430C: 7E8602FA FF0108F9
	v_mov_b32_e32 v68, v248                                    // 000000004314: 7E8803F8
	v_mov_b32_e32 v69, v249                                    // 000000004318: 7E8A03F9
	v_cndmask_b32_e64 v248, v68, v64, s[42:43]                 // 00000000431C: D10000F8 00AA8144
	v_cndmask_b32_e64 v250, v68, v65, s[78:79]                 // 000000004324: D10000FA 013A8344
	v_cndmask_b32_e64 v249, v69, v66, s[42:43]                 // 00000000432C: D10000F9 00AA8545
	v_cndmask_b32_e64 v251, v69, v67, s[78:79]                 // 000000004334: D10000FB 013A8745
	v_mov_b32_dpp v64, v57 row_shr:4 row_mask:0xf bank_mask:0xf// 00000000433C: 7E8002FA FF011439
	v_mov_b32_dpp v65, v57 row_shl:4 row_mask:0xf bank_mask:0xf// 000000004344: 7E8202FA FF010439
	v_cndmask_b32_e64 v252, v57, v64, s[44:45]                 // 00000000434C: D10000FC 00B28139
	v_cndmask_b32_e64 v253, v65, v57, s[44:45]                 // 000000004354: D10000FD 00B27341
	v_mov_b32_dpp v64, v252 row_shr:8 row_mask:0xf bank_mask:0xf// 00000000435C: 7E8002FA FF0118FC
	v_mov_b32_dpp v65, v252 row_shl:8 row_mask:0xf bank_mask:0xf// 000000004364: 7E8202FA FF0108FC
	v_mov_b32_dpp v66, v253 row_shr:8 row_mask:0xf bank_mask:0xf// 00000000436C: 7E8402FA FF0118FD
	v_mov_b32_dpp v67, v253 row_shl:8 row_mask:0xf bank_mask:0xf// 000000004374: 7E8602FA FF0108FD
	v_mov_b32_e32 v68, v252                                    // 00000000437C: 7E8803FC
	v_mov_b32_e32 v69, v253                                    // 000000004380: 7E8A03FD
	v_cndmask_b32_e64 v252, v68, v64, s[42:43]                 // 000000004384: D10000FC 00AA8144
	v_cndmask_b32_e64 v254, v68, v65, s[78:79]                 // 00000000438C: D10000FE 013A8344
	v_cndmask_b32_e64 v253, v69, v66, s[42:43]                 // 000000004394: D10000FD 00AA8545
	v_cndmask_b32_e64 v255, v69, v67, s[78:79]                 // 00000000439C: D10000FF 013A8745
	buffer_load_dword v58, v56, s[36:39], 0 offen              // 0000000043A4: E0501000 80093A38
	v_cvt_f32_i32_e32 v112, v112                               // 0000000043AC: 7EE00B70
	v_cvt_f32_i32_e32 v113, v113                               // 0000000043B0: 7EE20B71
	v_cvt_f32_i32_e32 v114, v114                               // 0000000043B4: 7EE40B72
	v_cvt_f32_i32_e32 v115, v115                               // 0000000043B8: 7EE60B73
	v_cvt_f32_i32_e32 v116, v116                               // 0000000043BC: 7EE80B74
	v_cvt_f32_i32_e32 v117, v117                               // 0000000043C0: 7EEA0B75
	v_cvt_f32_i32_e32 v118, v118                               // 0000000043C4: 7EEC0B76
	v_cvt_f32_i32_e32 v119, v119                               // 0000000043C8: 7EEE0B77
	v_cvt_f32_i32_e32 v120, v120                               // 0000000043CC: 7EF00B78
	v_cvt_f32_i32_e32 v121, v121                               // 0000000043D0: 7EF20B79
	v_cvt_f32_i32_e32 v122, v122                               // 0000000043D4: 7EF40B7A
	v_cvt_f32_i32_e32 v123, v123                               // 0000000043D8: 7EF60B7B
	v_cvt_f32_i32_e32 v124, v124                               // 0000000043DC: 7EF80B7C
	v_cvt_f32_i32_e32 v125, v125                               // 0000000043E0: 7EFA0B7D
	v_cvt_f32_i32_e32 v126, v126                               // 0000000043E4: 7EFC0B7E
	v_cvt_f32_i32_e32 v127, v127                               // 0000000043E8: 7EFE0B7F
	v_mul_f32_e32 v112, v18, v112                              // 0000000043EC: 0AE0E112
	v_mul_f32_e32 v113, v18, v113                              // 0000000043F0: 0AE2E312
	v_mul_f32_e32 v114, v18, v114                              // 0000000043F4: 0AE4E512
	v_mul_f32_e32 v115, v18, v115                              // 0000000043F8: 0AE6E712
	v_mul_f32_e32 v116, v18, v116                              // 0000000043FC: 0AE8E912
	v_mul_f32_e32 v117, v18, v117                              // 000000004400: 0AEAEB12
	v_mul_f32_e32 v118, v18, v118                              // 000000004404: 0AECED12
	v_mul_f32_e32 v119, v18, v119                              // 000000004408: 0AEEEF12
	v_mul_f32_e32 v120, v18, v120                              // 00000000440C: 0AF0F112
	v_mul_f32_e32 v121, v18, v121                              // 000000004410: 0AF2F312
	v_mul_f32_e32 v122, v18, v122                              // 000000004414: 0AF4F512
	v_mul_f32_e32 v123, v18, v123                              // 000000004418: 0AF6F712
	v_mul_f32_e32 v124, v18, v124                              // 00000000441C: 0AF8F912
	v_mul_f32_e32 v125, v18, v125                              // 000000004420: 0AFAFB12
	v_mul_f32_e32 v126, v18, v126                              // 000000004424: 0AFCFD12
	v_mul_f32_e32 v127, v18, v127                              // 000000004428: 0AFEFF12
	buffer_load_dwordx4 a[48:51], v28, s[16:19], 0 offen       // 00000000442C: E05C1000 8084301C
	v_mul_f32_dpp v112, v248, v112 quad_perm:[0,0,0,0] row_mask:0xf bank_mask:0xf// 000000004434: 0AE0E0FA FF0000F8
	v_mul_f32_dpp v113, v248, v113 quad_perm:[1,1,1,1] row_mask:0xf bank_mask:0xf// 00000000443C: 0AE2E2FA FF0055F8
	v_mul_f32_dpp v114, v248, v114 quad_perm:[2,2,2,2] row_mask:0xf bank_mask:0xf// 000000004444: 0AE4E4FA FF00AAF8
	v_mul_f32_dpp v115, v248, v115 quad_perm:[3,3,3,3] row_mask:0xf bank_mask:0xf// 00000000444C: 0AE6E6FA FF00FFF8
	v_mul_f32_dpp v116, v249, v116 quad_perm:[0,0,0,0] row_mask:0xf bank_mask:0xf// 000000004454: 0AE8E8FA FF0000F9
	v_mul_f32_dpp v117, v249, v117 quad_perm:[1,1,1,1] row_mask:0xf bank_mask:0xf// 00000000445C: 0AEAEAFA FF0055F9
	v_mul_f32_dpp v118, v249, v118 quad_perm:[2,2,2,2] row_mask:0xf bank_mask:0xf// 000000004464: 0AECECFA FF00AAF9
	v_mul_f32_dpp v119, v249, v119 quad_perm:[3,3,3,3] row_mask:0xf bank_mask:0xf// 00000000446C: 0AEEEEFA FF00FFF9
	v_mul_f32_dpp v120, v250, v120 quad_perm:[0,0,0,0] row_mask:0xf bank_mask:0xf// 000000004474: 0AF0F0FA FF0000FA
	v_mul_f32_dpp v121, v250, v121 quad_perm:[1,1,1,1] row_mask:0xf bank_mask:0xf// 00000000447C: 0AF2F2FA FF0055FA
	v_mul_f32_dpp v122, v250, v122 quad_perm:[2,2,2,2] row_mask:0xf bank_mask:0xf// 000000004484: 0AF4F4FA FF00AAFA
	v_mul_f32_dpp v123, v250, v123 quad_perm:[3,3,3,3] row_mask:0xf bank_mask:0xf// 00000000448C: 0AF6F6FA FF00FFFA
	v_mul_f32_dpp v124, v251, v124 quad_perm:[0,0,0,0] row_mask:0xf bank_mask:0xf// 000000004494: 0AF8F8FA FF0000FB
	v_mul_f32_dpp v125, v251, v125 quad_perm:[1,1,1,1] row_mask:0xf bank_mask:0xf// 00000000449C: 0AFAFAFA FF0055FB
	v_mul_f32_dpp v126, v251, v126 quad_perm:[2,2,2,2] row_mask:0xf bank_mask:0xf// 0000000044A4: 0AFCFCFA FF00AAFB
	v_mul_f32_dpp v127, v251, v127 quad_perm:[3,3,3,3] row_mask:0xf bank_mask:0xf// 0000000044AC: 0AFEFEFA FF00FFFB
	buffer_load_dwordx4 a[52:55], v28, s[16:19], 0 offen offset:1024// 0000000044B4: E05C1400 8084341C
	s_cmp_le_i32 s90, s89                                      // 0000000044BC: BF05595A
	s_cbranch_scc1 label_0922                                  // 0000000044C0: BF850071
	v_mov_b32_e32 v66, 0xff800000                              // 0000000044C4: 7E8402FF FF800000
	s_mov_b32 s60, s90                                         // 0000000044CC: BEBC005A
	s_add_u32 s61, s89, 0xff                                   // 0000000044D0: 803DFF59 000000FF
	v_mov_b32_e32 v64, s61                                     // 0000000044D8: 7E80023D
	v_lshrrev_b32_e32 v240, 4, v0                              // 0000000044DC: 21E00084
	v_mul_i32_i24_e32 v240, 4, v240                            // 0000000044E0: 0DE1E084
	v_add_u32_e32 v240, s60, v240                              // 0000000044E4: 69E1E03C
	s_mov_b32 s61, 0                                           // 0000000044E8: BEBD0080
	s_mul_i32 s60, 16, s7                                      // 0000000044EC: 923C0790
	v_sub_u32_e64 v240, v240, s61                              // 0000000044F0: D13500F0 00007BF0
	v_add_u32_e32 v240, s60, v240                              // 0000000044F8: 69E1E03C
	v_add_u32_e32 v241, 1, v240                                // 0000000044FC: 69E3E081
	v_add_u32_e32 v242, 2, v240                                // 000000004500: 69E5E082
	v_add_u32_e32 v243, 3, v240                                // 000000004504: 69E7E083
	v_cmp_le_u32_e64 s[40:41], v240, v64                       // 000000004508: D0CB0028 000281F0
	v_add_u32_e32 v240, 64, v240                               // 000000004510: 69E1E0C0
	s_nop 0                                                    // 000000004514: BF800000
	v_cndmask_b32_e64 v112, v66, v112, s[40:41]                // 000000004518: D1000070 00A2E142
	v_cmp_le_u32_e64 s[40:41], v241, v64                       // 000000004520: D0CB0028 000281F1
	v_add_u32_e32 v241, 64, v241                               // 000000004528: 69E3E2C0
	s_nop 0                                                    // 00000000452C: BF800000
	v_cndmask_b32_e64 v113, v66, v113, s[40:41]                // 000000004530: D1000071 00A2E342
	v_cmp_le_u32_e64 s[40:41], v242, v64                       // 000000004538: D0CB0028 000281F2
	v_add_u32_e32 v242, 64, v242                               // 000000004540: 69E5E4C0
	s_nop 0                                                    // 000000004544: BF800000
	v_cndmask_b32_e64 v114, v66, v114, s[40:41]                // 000000004548: D1000072 00A2E542
	v_cmp_le_u32_e64 s[40:41], v243, v64                       // 000000004550: D0CB0028 000281F3
	v_add_u32_e32 v243, 64, v243                               // 000000004558: 69E7E6C0
	s_nop 0                                                    // 00000000455C: BF800000
	v_cndmask_b32_e64 v115, v66, v115, s[40:41]                // 000000004560: D1000073 00A2E742
	v_cmp_le_u32_e64 s[40:41], v240, v64                       // 000000004568: D0CB0028 000281F0
	v_add_u32_e32 v240, 64, v240                               // 000000004570: 69E1E0C0
	s_nop 0                                                    // 000000004574: BF800000
	v_cndmask_b32_e64 v116, v66, v116, s[40:41]                // 000000004578: D1000074 00A2E942
	v_cmp_le_u32_e64 s[40:41], v241, v64                       // 000000004580: D0CB0028 000281F1
	v_add_u32_e32 v241, 64, v241                               // 000000004588: 69E3E2C0
	s_nop 0                                                    // 00000000458C: BF800000
	v_cndmask_b32_e64 v117, v66, v117, s[40:41]                // 000000004590: D1000075 00A2EB42
	v_cmp_le_u32_e64 s[40:41], v242, v64                       // 000000004598: D0CB0028 000281F2
	v_add_u32_e32 v242, 64, v242                               // 0000000045A0: 69E5E4C0
	s_nop 0                                                    // 0000000045A4: BF800000
	v_cndmask_b32_e64 v118, v66, v118, s[40:41]                // 0000000045A8: D1000076 00A2ED42
	v_cmp_le_u32_e64 s[40:41], v243, v64                       // 0000000045B0: D0CB0028 000281F3
	v_add_u32_e32 v243, 64, v243                               // 0000000045B8: 69E7E6C0
	s_nop 0                                                    // 0000000045BC: BF800000
	v_cndmask_b32_e64 v119, v66, v119, s[40:41]                // 0000000045C0: D1000077 00A2EF42
	v_cmp_le_u32_e64 s[40:41], v240, v64                       // 0000000045C8: D0CB0028 000281F0
	v_add_u32_e32 v240, 64, v240                               // 0000000045D0: 69E1E0C0
	s_nop 0                                                    // 0000000045D4: BF800000
	v_cndmask_b32_e64 v120, v66, v120, s[40:41]                // 0000000045D8: D1000078 00A2F142
	v_cmp_le_u32_e64 s[40:41], v241, v64                       // 0000000045E0: D0CB0028 000281F1
	v_add_u32_e32 v241, 64, v241                               // 0000000045E8: 69E3E2C0
	s_nop 0                                                    // 0000000045EC: BF800000
	v_cndmask_b32_e64 v121, v66, v121, s[40:41]                // 0000000045F0: D1000079 00A2F342
	v_cmp_le_u32_e64 s[40:41], v242, v64                       // 0000000045F8: D0CB0028 000281F2
	v_add_u32_e32 v242, 64, v242                               // 000000004600: 69E5E4C0
	s_nop 0                                                    // 000000004604: BF800000
	v_cndmask_b32_e64 v122, v66, v122, s[40:41]                // 000000004608: D100007A 00A2F542
	v_cmp_le_u32_e64 s[40:41], v243, v64                       // 000000004610: D0CB0028 000281F3
	v_add_u32_e32 v243, 64, v243                               // 000000004618: 69E7E6C0
	s_nop 0                                                    // 00000000461C: BF800000
	v_cndmask_b32_e64 v123, v66, v123, s[40:41]                // 000000004620: D100007B 00A2F742
	v_cmp_le_u32_e64 s[40:41], v240, v64                       // 000000004628: D0CB0028 000281F0
	v_add_u32_e32 v240, 64, v240                               // 000000004630: 69E1E0C0
	s_nop 0                                                    // 000000004634: BF800000
	v_cndmask_b32_e64 v124, v66, v124, s[40:41]                // 000000004638: D100007C 00A2F942
	v_cmp_le_u32_e64 s[40:41], v241, v64                       // 000000004640: D0CB0028 000281F1
	v_add_u32_e32 v241, 64, v241                               // 000000004648: 69E3E2C0
	s_nop 0                                                    // 00000000464C: BF800000
	v_cndmask_b32_e64 v125, v66, v125, s[40:41]                // 000000004650: D100007D 00A2FB42
	v_cmp_le_u32_e64 s[40:41], v242, v64                       // 000000004658: D0CB0028 000281F2
	v_add_u32_e32 v242, 64, v242                               // 000000004660: 69E5E4C0
	s_nop 0                                                    // 000000004664: BF800000
	v_cndmask_b32_e64 v126, v66, v126, s[40:41]                // 000000004668: D100007E 00A2FD42
	v_cmp_le_u32_e64 s[40:41], v243, v64                       // 000000004670: D0CB0028 000281F3
	v_add_u32_e32 v243, 64, v243                               // 000000004678: 69E7E6C0
	s_nop 0                                                    // 00000000467C: BF800000
	v_cndmask_b32_e64 v127, v66, v127, s[40:41]                // 000000004680: D100007F 00A2FF42

0000000000004688 <label_0922>:
	s_add_u32 s90, s91, s90                                    // 000000004688: 805A5A5B
	v_mov_b32_e32 v48, v112                                    // 00000000468C: 7E600370
	v_max3_f32 v48, v112, v113, v48                            // 000000004690: D1D30030 04C2E370
	v_max3_f32 v48, v114, v115, v48                            // 000000004698: D1D30030 04C2E772
	v_max3_f32 v48, v116, v117, v48                            // 0000000046A0: D1D30030 04C2EB74
	v_max3_f32 v48, v118, v119, v48                            // 0000000046A8: D1D30030 04C2EF76
	v_max3_f32 v48, v120, v121, v48                            // 0000000046B0: D1D30030 04C2F378
	v_max3_f32 v48, v122, v123, v48                            // 0000000046B8: D1D30030 04C2F77A
	v_max3_f32 v48, v124, v125, v48                            // 0000000046C0: D1D30030 04C2FB7C
	v_max3_f32 v48, v126, v127, v48                            // 0000000046C8: D1D30030 04C2FF7E
	ds_write_b32 v8, v48 offset:16896                          // 0000000046D0: D81A4200 00003008
	buffer_load_dwordx4 a[56:59], v29, s[16:19], 0 offen       // 0000000046D8: E05C1000 8084381D
	v_mul_u32_u24_dpp v64, v17, v54 row_newbcast:1 row_mask:0xf bank_mask:0xf// 0000000046E0: 10806CFA FF015111
	v_mul_u32_u24_dpp v65, v17, v54 row_newbcast:5 row_mask:0xf bank_mask:0xf// 0000000046E8: 10826CFA FF015511
	v_mul_u32_u24_dpp v66, v17, v54 row_newbcast:9 row_mask:0xf bank_mask:0xf// 0000000046F0: 10846CFA FF015911
	v_mul_u32_u24_dpp v67, v17, v54 row_newbcast:13 row_mask:0xf bank_mask:0xf// 0000000046F8: 10866CFA FF015D11
	v_add_u32_e32 v34, v64, v6                                 // 000000004700: 68440D40
	v_add_u32_e32 v35, v65, v6                                 // 000000004704: 68460D41
	v_add_u32_e32 v36, v66, v6                                 // 000000004708: 68480D42
	v_add_u32_e32 v37, v67, v6                                 // 00000000470C: 684A0D43
	v_mul_f32_e32 v208, v49, v208                              // 000000004710: 0BA1A131
	v_mul_f32_e32 v209, v49, v209                              // 000000004714: 0BA3A331
	v_mul_f32_e32 v210, v49, v210                              // 000000004718: 0BA5A531
	v_mul_f32_e32 v211, v49, v211                              // 00000000471C: 0BA7A731
	v_mul_f32_e32 v212, v49, v212                              // 000000004720: 0BA9A931
	v_mul_f32_e32 v213, v49, v213                              // 000000004724: 0BABAB31
	v_mul_f32_e32 v214, v49, v214                              // 000000004728: 0BADAD31
	v_mul_f32_e32 v215, v49, v215                              // 00000000472C: 0BAFAF31
	s_waitcnt lgkmcnt(0)                                       // 000000004730: BF8CC07F
	s_barrier                                                  // 000000004734: BF8A0000
	ds_read_b32 v64, v7 offset:16896                           // 000000004738: D86C4200 40000007
	ds_read_b32 v65, v7 offset:16960                           // 000000004740: D86C4240 41000007
	ds_read_b32 v66, v7 offset:17024                           // 000000004748: D86C4280 42000007
	ds_read_b32 v67, v7 offset:17088                           // 000000004750: D86C42C0 43000007
	ds_read_b32 v68, v7 offset:17152                           // 000000004758: D86C4300 44000007
	ds_read_b32 v69, v7 offset:17216                           // 000000004760: D86C4340 45000007
	ds_read_b32 v70, v7 offset:17280                           // 000000004768: D86C4380 46000007
	ds_read_b32 v71, v7 offset:17344                           // 000000004770: D86C43C0 47000007
	ds_read_b32 v72, v7 offset:17408                           // 000000004778: D86C4400 48000007
	ds_read_b32 v73, v7 offset:17472                           // 000000004780: D86C4440 49000007
	ds_read_b32 v74, v7 offset:17536                           // 000000004788: D86C4480 4A000007
	ds_read_b32 v75, v7 offset:17600                           // 000000004790: D86C44C0 4B000007
	ds_read_b32 v76, v7 offset:17664                           // 000000004798: D86C4500 4C000007
	ds_read_b32 v77, v7 offset:17728                           // 0000000047A0: D86C4540 4D000007
	ds_read_b32 v78, v7 offset:17792                           // 0000000047A8: D86C4580 4E000007
	ds_read_b32 v79, v7 offset:17856                           // 0000000047B0: D86C45C0 4F000007
	buffer_load_dwordx4 a[60:63], v29, s[16:19], 0 offen offset:1024// 0000000047B8: E05C1400 80843C1D
	v_cvt_f32_i32_e32 v176, v176                               // 0000000047C0: 7F600BB0
	v_cvt_f32_i32_e32 v177, v177                               // 0000000047C4: 7F620BB1
	v_cvt_f32_i32_e32 v178, v178                               // 0000000047C8: 7F640BB2
	v_cvt_f32_i32_e32 v179, v179                               // 0000000047CC: 7F660BB3
	v_cvt_f32_i32_e32 v180, v180                               // 0000000047D0: 7F680BB4
	v_cvt_f32_i32_e32 v181, v181                               // 0000000047D4: 7F6A0BB5
	v_cvt_f32_i32_e32 v182, v182                               // 0000000047D8: 7F6C0BB6
	v_cvt_f32_i32_e32 v183, v183                               // 0000000047DC: 7F6E0BB7
	v_mul_f32_e32 v176, v44, v176                              // 0000000047E0: 0B61612C
	v_mul_f32_e32 v177, v44, v177                              // 0000000047E4: 0B63632C
	v_mul_f32_e32 v178, v44, v178                              // 0000000047E8: 0B65652C
	v_mul_f32_e32 v179, v44, v179                              // 0000000047EC: 0B67672C
	v_mul_f32_e32 v180, v44, v180                              // 0000000047F0: 0B69692C
	v_mul_f32_e32 v181, v44, v181                              // 0000000047F4: 0B6B6B2C
	v_mul_f32_e32 v182, v44, v182                              // 0000000047F8: 0B6D6D2C
	v_mul_f32_e32 v183, v44, v183                              // 0000000047FC: 0B6F6F2C
	s_waitcnt lgkmcnt(0)                                       // 000000004800: BF8CC07F
	v_max3_f32 v48, v64, v65, v48                              // 000000004804: D1D30030 04C28340
	v_max3_f32 v48, v66, v67, v48                              // 00000000480C: D1D30030 04C28742
	v_max3_f32 v48, v68, v69, v48                              // 000000004814: D1D30030 04C28B44
	v_max3_f32 v48, v70, v71, v48                              // 00000000481C: D1D30030 04C28F46
	v_max3_f32 v48, v72, v73, v48                              // 000000004824: D1D30030 04C29348
	v_max3_f32 v48, v74, v75, v48                              // 00000000482C: D1D30030 04C2974A
	v_max3_f32 v48, v76, v77, v48                              // 000000004834: D1D30030 04C29B4C
	v_max3_f32 v48, v78, v79, v48                              // 00000000483C: D1D30030 04C29F4E
	buffer_load_dwordx4 a[96:99], v34, s[20:23], 0 offen       // 000000004844: E05C1000 80856022
	v_mov_b32_e32 v64, 0xff800000                              // 00000000484C: 7E8002FF FF800000
	v_cmp_eq_u32_e64 s[40:41], v64, v11                        // 000000004854: D0CA0028 00021740
	s_nop 1                                                    // 00000000485C: BF800001
	v_max_f32_e32 v15, v48, v11                                // 000000004860: 161E1730
	v_mul_f32_e32 v53, s64, v15                                // 000000004864: 0A6A1E40
	v_fma_f32 v112, v112, s64, -v53                            // 000000004868: D1CB0070 84D48170
	v_fma_f32 v113, v113, s64, -v53                            // 000000004870: D1CB0071 84D48171
	v_fma_f32 v114, v114, s64, -v53                            // 000000004878: D1CB0072 84D48172
	v_fma_f32 v115, v115, s64, -v53                            // 000000004880: D1CB0073 84D48173
	v_fma_f32 v116, v116, s64, -v53                            // 000000004888: D1CB0074 84D48174
	v_fma_f32 v117, v117, s64, -v53                            // 000000004890: D1CB0075 84D48175
	v_fma_f32 v118, v118, s64, -v53                            // 000000004898: D1CB0076 84D48176
	v_fma_f32 v119, v119, s64, -v53                            // 0000000048A0: D1CB0077 84D48177
	v_fma_f32 v120, v120, s64, -v53                            // 0000000048A8: D1CB0078 84D48178
	v_fma_f32 v121, v121, s64, -v53                            // 0000000048B0: D1CB0079 84D48179
	v_fma_f32 v122, v122, s64, -v53                            // 0000000048B8: D1CB007A 84D4817A
	v_fma_f32 v123, v123, s64, -v53                            // 0000000048C0: D1CB007B 84D4817B
	v_fma_f32 v124, v124, s64, -v53                            // 0000000048C8: D1CB007C 84D4817C
	v_fma_f32 v125, v125, s64, -v53                            // 0000000048D0: D1CB007D 84D4817D
	v_fma_f32 v126, v126, s64, -v53                            // 0000000048D8: D1CB007E 84D4817E
	v_fma_f32 v127, v127, s64, -v53                            // 0000000048E0: D1CB007F 84D4817F
	buffer_load_dwordx4 a[100:103], v35, s[20:23], 0 offen     // 0000000048E8: E05C1000 80856423
	v_exp_f32_e32 v112, v112                                   // 0000000048F0: 7EE04170
	v_exp_f32_e32 v113, v113                                   // 0000000048F4: 7EE24171
	v_exp_f32_e32 v114, v114                                   // 0000000048F8: 7EE44172
	v_exp_f32_e32 v115, v115                                   // 0000000048FC: 7EE64173
	v_exp_f32_e32 v116, v116                                   // 000000004900: 7EE84174
	v_exp_f32_e32 v117, v117                                   // 000000004904: 7EEA4175
	v_exp_f32_e32 v118, v118                                   // 000000004908: 7EEC4176
	v_exp_f32_e32 v119, v119                                   // 00000000490C: 7EEE4177
	v_exp_f32_e32 v120, v120                                   // 000000004910: 7EF04178
	v_exp_f32_e32 v121, v121                                   // 000000004914: 7EF24179
	v_exp_f32_e32 v122, v122                                   // 000000004918: 7EF4417A
	v_exp_f32_e32 v123, v123                                   // 00000000491C: 7EF6417B
	v_exp_f32_e32 v124, v124                                   // 000000004920: 7EF8417C
	v_exp_f32_e32 v125, v125                                   // 000000004924: 7EFA417D
	v_exp_f32_e32 v126, v126                                   // 000000004928: 7EFC417E
	v_exp_f32_e32 v127, v127                                   // 00000000492C: 7EFE417F
	buffer_load_dwordx4 a[104:107], v36, s[20:23], 0 offen     // 000000004930: E05C1000 80856824
	v_mul_f32_dpp v240, v252, v112 quad_perm:[0,0,0,0] row_mask:0xf bank_mask:0xf// 000000004938: 0BE0E0FA FF0000FC
	v_mul_f32_dpp v241, v252, v113 quad_perm:[1,1,1,1] row_mask:0xf bank_mask:0xf// 000000004940: 0BE2E2FA FF0055FC
	v_mul_f32_dpp v242, v252, v114 quad_perm:[2,2,2,2] row_mask:0xf bank_mask:0xf// 000000004948: 0BE4E4FA FF00AAFC
	v_mul_f32_dpp v243, v252, v115 quad_perm:[3,3,3,3] row_mask:0xf bank_mask:0xf// 000000004950: 0BE6E6FA FF00FFFC
	v_mul_f32_dpp v244, v253, v116 quad_perm:[0,0,0,0] row_mask:0xf bank_mask:0xf// 000000004958: 0BE8E8FA FF0000FD
	v_mul_f32_dpp v245, v253, v117 quad_perm:[1,1,1,1] row_mask:0xf bank_mask:0xf// 000000004960: 0BEAEAFA FF0055FD
	v_mul_f32_dpp v246, v253, v118 quad_perm:[2,2,2,2] row_mask:0xf bank_mask:0xf// 000000004968: 0BECECFA FF00AAFD
	v_mul_f32_dpp v247, v253, v119 quad_perm:[3,3,3,3] row_mask:0xf bank_mask:0xf// 000000004970: 0BEEEEFA FF00FFFD
	v_mul_f32_dpp v248, v254, v120 quad_perm:[0,0,0,0] row_mask:0xf bank_mask:0xf// 000000004978: 0BF0F0FA FF0000FE
	v_mul_f32_dpp v249, v254, v121 quad_perm:[1,1,1,1] row_mask:0xf bank_mask:0xf// 000000004980: 0BF2F2FA FF0055FE
	v_mul_f32_dpp v250, v254, v122 quad_perm:[2,2,2,2] row_mask:0xf bank_mask:0xf// 000000004988: 0BF4F4FA FF00AAFE
	v_mul_f32_dpp v251, v254, v123 quad_perm:[3,3,3,3] row_mask:0xf bank_mask:0xf// 000000004990: 0BF6F6FA FF00FFFE
	v_mul_f32_dpp v252, v255, v124 quad_perm:[0,0,0,0] row_mask:0xf bank_mask:0xf// 000000004998: 0BF8F8FA FF0000FF
	v_mul_f32_dpp v253, v255, v125 quad_perm:[1,1,1,1] row_mask:0xf bank_mask:0xf// 0000000049A0: 0BFAFAFA FF0055FF
	v_mul_f32_dpp v254, v255, v126 quad_perm:[2,2,2,2] row_mask:0xf bank_mask:0xf// 0000000049A8: 0BFCFCFA FF00AAFF
	v_mul_f32_dpp v255, v255, v127 quad_perm:[3,3,3,3] row_mask:0xf bank_mask:0xf// 0000000049B0: 0BFEFEFA FF00FFFF
	v_mov_b32_e32 v48, 0x358637bd                              // 0000000049B8: 7E6002FF 358637BD
	v_max3_f32 v48, |v240|, |v241|, v48                        // 0000000049C0: D1D30330 04C3E3F0
	v_max3_f32 v48, |v242|, |v243|, v48                        // 0000000049C8: D1D30330 04C3E7F2
	v_max3_f32 v48, |v244|, |v245|, v48                        // 0000000049D0: D1D30330 04C3EBF4
	v_max3_f32 v48, |v246|, |v247|, v48                        // 0000000049D8: D1D30330 04C3EFF6
	v_max3_f32 v48, |v248|, |v249|, v48                        // 0000000049E0: D1D30330 04C3F3F8
	v_max3_f32 v48, |v250|, |v251|, v48                        // 0000000049E8: D1D30330 04C3F7FA
	v_max3_f32 v48, |v252|, |v253|, v48                        // 0000000049F0: D1D30330 04C3FBFC
	v_max3_f32 v48, |v254|, |v255|, v48                        // 0000000049F8: D1D30330 04C3FFFE
	buffer_load_dwordx4 a[108:111], v37, s[20:23], 0 offen     // 000000004A00: E05C1000 80856C25
	ds_write_b32 v8, v48 offset:20992                          // 000000004A08: D81A5200 00003008
	v_sub_f32_e32 v49, v11, v15                                // 000000004A10: 04621F0B
	v_cndmask_b32_e64 v49, v49, 0, s[40:41]                    // 000000004A14: D1000031 00A10131
	v_mov_b32_e32 v11, v15                                     // 000000004A1C: 7E16030F
	v_mul_f32_e32 v49, s64, v49                                // 000000004A20: 0A626240
	v_exp_f32_e32 v49, v49                                     // 000000004A24: 7E624131
	s_waitcnt lgkmcnt(0)                                       // 000000004A28: BF8CC07F
	s_barrier                                                  // 000000004A2C: BF8A0000
	ds_read_b32 v64, v7 offset:20992                           // 000000004A30: D86C5200 40000007
	ds_read_b32 v65, v7 offset:21056                           // 000000004A38: D86C5240 41000007
	ds_read_b32 v66, v7 offset:21120                           // 000000004A40: D86C5280 42000007
	ds_read_b32 v67, v7 offset:21184                           // 000000004A48: D86C52C0 43000007
	ds_read_b32 v68, v7 offset:21248                           // 000000004A50: D86C5300 44000007
	ds_read_b32 v69, v7 offset:21312                           // 000000004A58: D86C5340 45000007
	ds_read_b32 v70, v7 offset:21376                           // 000000004A60: D86C5380 46000007
	ds_read_b32 v71, v7 offset:21440                           // 000000004A68: D86C53C0 47000007
	ds_read_b32 v72, v7 offset:21504                           // 000000004A70: D86C5400 48000007
	ds_read_b32 v73, v7 offset:21568                           // 000000004A78: D86C5440 49000007
	ds_read_b32 v74, v7 offset:21632                           // 000000004A80: D86C5480 4A000007
	ds_read_b32 v75, v7 offset:21696                           // 000000004A88: D86C54C0 4B000007
	ds_read_b32 v76, v7 offset:21760                           // 000000004A90: D86C5500 4C000007
	ds_read_b32 v77, v7 offset:21824                           // 000000004A98: D86C5540 4D000007
	ds_read_b32 v78, v7 offset:21888                           // 000000004AA0: D86C5580 4E000007
	ds_read_b32 v79, v7 offset:21952                           // 000000004AA8: D86C55C0 4F000007
	v_mul_f32_e32 v38, v49, v38                                // 000000004AB0: 0A4C4D31
	v_mov_b32_e32 v15, v112                                    // 000000004AB4: 7E1E0370
	v_add_f32_e32 v15, v113, v15                               // 000000004AB8: 021E1F71
	v_add_f32_e32 v15, v114, v15                               // 000000004ABC: 021E1F72
	v_add_f32_e32 v15, v115, v15                               // 000000004AC0: 021E1F73
	v_add_f32_e32 v15, v116, v15                               // 000000004AC4: 021E1F74
	v_add_f32_e32 v15, v117, v15                               // 000000004AC8: 021E1F75
	v_add_f32_e32 v15, v118, v15                               // 000000004ACC: 021E1F76
	v_add_f32_e32 v15, v119, v15                               // 000000004AD0: 021E1F77
	v_add_f32_e32 v15, v120, v15                               // 000000004AD4: 021E1F78
	v_add_f32_e32 v15, v121, v15                               // 000000004AD8: 021E1F79
	v_add_f32_e32 v15, v122, v15                               // 000000004ADC: 021E1F7A
	v_add_f32_e32 v15, v123, v15                               // 000000004AE0: 021E1F7B
	v_add_f32_e32 v15, v124, v15                               // 000000004AE4: 021E1F7C
	v_add_f32_e32 v15, v125, v15                               // 000000004AE8: 021E1F7D
	v_add_f32_e32 v15, v126, v15                               // 000000004AEC: 021E1F7E
	v_add_f32_e32 v15, v127, v15                               // 000000004AF0: 021E1F7F
	v_add_f32_e32 v38, v15, v38                                // 000000004AF4: 024C4D0F
	s_waitcnt lgkmcnt(0)                                       // 000000004AF8: BF8CC07F
	v_max3_f32 v48, |v64|, |v65|, v48                          // 000000004AFC: D1D30330 04C28340
	v_max3_f32 v48, |v66|, |v67|, v48                          // 000000004B04: D1D30330 04C28742
	v_max3_f32 v48, |v68|, |v69|, v48                          // 000000004B0C: D1D30330 04C28B44
	v_max3_f32 v48, |v70|, |v71|, v48                          // 000000004B14: D1D30330 04C28F46
	v_max3_f32 v48, |v72|, |v73|, v48                          // 000000004B1C: D1D30330 04C29348
	v_max3_f32 v48, |v74|, |v75|, v48                          // 000000004B24: D1D30330 04C2974A
	v_max3_f32 v48, |v76|, |v77|, v48                          // 000000004B2C: D1D30330 04C29B4C
	v_max3_f32 v48, |v78|, |v79|, v48                          // 000000004B34: D1D30330 04C29F4E
	s_nop 2                                                    // 000000004B3C: BF800002
	v_rcp_f32_e32 v48, v48                                     // 000000004B40: 7E604530
	s_nop 1                                                    // 000000004B44: BF800001
	v_mul_f32_e32 v48, 0x42fe0000, v48                         // 000000004B48: 0A6060FF 42FE0000
	v_mul_f32_e32 v112, v48, v240                              // 000000004B50: 0AE1E130
	v_mul_f32_e32 v113, v48, v241                              // 000000004B54: 0AE3E330
	v_mul_f32_e32 v114, v48, v242                              // 000000004B58: 0AE5E530
	v_mul_f32_e32 v115, v48, v243                              // 000000004B5C: 0AE7E730
	v_mul_f32_e32 v116, v48, v244                              // 000000004B60: 0AE9E930
	v_mul_f32_e32 v117, v48, v245                              // 000000004B64: 0AEBEB30
	v_mul_f32_e32 v118, v48, v246                              // 000000004B68: 0AEDED30
	v_mul_f32_e32 v119, v48, v247                              // 000000004B6C: 0AEFEF30
	v_mul_f32_e32 v120, v48, v248                              // 000000004B70: 0AF1F130
	v_mul_f32_e32 v121, v48, v249                              // 000000004B74: 0AF3F330
	v_mul_f32_e32 v122, v48, v250                              // 000000004B78: 0AF5F530
	v_mul_f32_e32 v123, v48, v251                              // 000000004B7C: 0AF7F730
	v_mul_f32_e32 v124, v48, v252                              // 000000004B80: 0AF9F930
	v_mul_f32_e32 v125, v48, v253                              // 000000004B84: 0AFBFB30
	v_mul_f32_e32 v126, v48, v254                              // 000000004B88: 0AFDFD30
	v_mul_f32_e32 v127, v48, v255                              // 000000004B8C: 0AFFFF30
	v_cvt_i32_f32_e32 v112, v112                               // 000000004B90: 7EE01170
	v_cvt_i32_f32_e32 v113, v113                               // 000000004B94: 7EE21171
	v_cvt_i32_f32_e32 v114, v114                               // 000000004B98: 7EE41172
	v_cvt_i32_f32_e32 v115, v115                               // 000000004B9C: 7EE61173
	v_cvt_i32_f32_e32 v116, v116                               // 000000004BA0: 7EE81174
	v_cvt_i32_f32_e32 v117, v117                               // 000000004BA4: 7EEA1175
	v_cvt_i32_f32_e32 v118, v118                               // 000000004BA8: 7EEC1176
	v_cvt_i32_f32_e32 v119, v119                               // 000000004BAC: 7EEE1177
	v_cvt_i32_f32_e32 v120, v120                               // 000000004BB0: 7EF01178
	v_cvt_i32_f32_e32 v121, v121                               // 000000004BB4: 7EF21179
	v_cvt_i32_f32_e32 v122, v122                               // 000000004BB8: 7EF4117A
	v_cvt_i32_f32_e32 v123, v123                               // 000000004BBC: 7EF6117B
	v_cvt_i32_f32_e32 v124, v124                               // 000000004BC0: 7EF8117C
	v_cvt_i32_f32_e32 v125, v125                               // 000000004BC4: 7EFA117D
	v_cvt_i32_f32_e32 v126, v126                               // 000000004BC8: 7EFC117E
	v_cvt_i32_f32_e32 v127, v127                               // 000000004BCC: 7EFE117F
	v_perm_b32 v112, v113, v112, s53                           // 000000004BD0: D1ED0070 00D6E171
	v_perm_b32 v112, v114, v112, s54                           // 000000004BD8: D1ED0070 00DAE172
	v_perm_b32 v112, v115, v112, s55                           // 000000004BE0: D1ED0070 00DEE173
	v_perm_b32 v113, v117, v116, s53                           // 000000004BE8: D1ED0071 00D6E975
	v_perm_b32 v113, v118, v113, s54                           // 000000004BF0: D1ED0071 00DAE376
	v_perm_b32 v113, v119, v113, s55                           // 000000004BF8: D1ED0071 00DEE377
	v_perm_b32 v114, v121, v120, s53                           // 000000004C00: D1ED0072 00D6F179
	v_perm_b32 v114, v122, v114, s54                           // 000000004C08: D1ED0072 00DAE57A
	v_perm_b32 v114, v123, v114, s55                           // 000000004C10: D1ED0072 00DEE57B
	v_perm_b32 v115, v125, v124, s53                           // 000000004C18: D1ED0073 00D6F97D
	v_perm_b32 v115, v126, v115, s54                           // 000000004C20: D1ED0073 00DAE77E
	v_perm_b32 v115, v127, v115, s55                           // 000000004C28: D1ED0073 00DEE77F
	ds_write_b32 v10, v112 offset:25088                        // 000000004C30: D81A6200 0000700A
	ds_write_b32 v10, v113 offset:26112                        // 000000004C38: D81A6600 0000710A
	ds_write_b32 v10, v114 offset:27136                        // 000000004C40: D81A6A00 0000720A
	ds_write_b32 v10, v115 offset:28160                        // 000000004C48: D81A6E00 0000730A
	v_add_f32_e32 v208, v208, v176                             // 000000004C50: 03A161D0
	v_add_f32_e32 v209, v209, v177                             // 000000004C54: 03A363D1
	v_add_f32_e32 v210, v210, v178                             // 000000004C58: 03A565D2
	v_add_f32_e32 v211, v211, v179                             // 000000004C5C: 03A767D3
	v_add_f32_e32 v212, v212, v180                             // 000000004C60: 03A969D4
	v_add_f32_e32 v213, v213, v181                             // 000000004C64: 03AB6BD5
	v_add_f32_e32 v214, v214, v182                             // 000000004C68: 03AD6DD6
	v_add_f32_e32 v215, v215, v183                             // 000000004C6C: 03AF6FD7
	v_rcp_f32_e32 v44, v48                                     // 000000004C70: 7E584530
	s_waitcnt lgkmcnt(0)                                       // 000000004C74: BF8CC07F
	s_barrier                                                  // 000000004C78: BF8A0000
	ds_read_b64 v[112:113], v9 offset:25088                    // 000000004C7C: D8EC6200 70000009
	ds_read_b64 v[114:115], v9 offset:25216                    // 000000004C84: D8EC6280 72000009
	ds_read_b64 v[116:117], v9 offset:26112                    // 000000004C8C: D8EC6600 74000009
	ds_read_b64 v[118:119], v9 offset:26240                    // 000000004C94: D8EC6680 76000009
	ds_read_b64 v[120:121], v9 offset:27136                    // 000000004C9C: D8EC6A00 78000009
	ds_read_b64 v[122:123], v9 offset:27264                    // 000000004CA4: D8EC6A80 7A000009
	ds_read_b64 v[124:125], v9 offset:28160                    // 000000004CAC: D8EC6E00 7C000009
	ds_read_b64 v[126:127], v9 offset:28288                    // 000000004CB4: D8EC6E80 7E000009
	s_waitcnt vmcnt(15)                                        // 000000004CBC: BF8C0F7F
	s_waitcnt lgkmcnt(7)                                       // 000000004CC0: BF8CC77F
	v_mfma_i32_16x16x32_i8 v[176:179], a[64:65], v[112:113], 0 // 000000004CC4: D3D700B0 0A02E140
	buffer_load_dwordx4 a[112:115], v34, s[20:23], 0 offen offset:1024// 000000004CCC: E05C1400 80857022
	s_waitcnt lgkmcnt(6)                                       // 000000004CD4: BF8CC67F
	v_mfma_i32_16x16x32_i8 v[176:179], a[66:67], v[114:115], v[176:179]// 000000004CD8: D3D700B0 0EC2E542
	s_waitcnt lgkmcnt(5)                                       // 000000004CE0: BF8CC57F
	v_mfma_i32_16x16x32_i8 v[176:179], a[68:69], v[116:117], v[176:179]// 000000004CE4: D3D700B0 0EC2E944
	s_waitcnt lgkmcnt(4)                                       // 000000004CEC: BF8CC47F
	v_mfma_i32_16x16x32_i8 v[176:179], a[70:71], v[118:119], v[176:179]// 000000004CF0: D3D700B0 0EC2ED46
	s_waitcnt lgkmcnt(3)                                       // 000000004CF8: BF8CC37F
	v_mfma_i32_16x16x32_i8 v[176:179], a[72:73], v[120:121], v[176:179]// 000000004CFC: D3D700B0 0EC2F148
	buffer_load_dwordx4 a[116:119], v35, s[20:23], 0 offen offset:1024// 000000004D04: E05C1400 80857423
	s_waitcnt lgkmcnt(2)                                       // 000000004D0C: BF8CC27F
	v_mfma_i32_16x16x32_i8 v[176:179], a[74:75], v[122:123], v[176:179]// 000000004D10: D3D700B0 0EC2F54A
	s_waitcnt lgkmcnt(1)                                       // 000000004D18: BF8CC17F
	v_mfma_i32_16x16x32_i8 v[176:179], a[76:77], v[124:125], v[176:179]// 000000004D1C: D3D700B0 0EC2F94C
	s_waitcnt lgkmcnt(0)                                       // 000000004D24: BF8CC07F
	v_mfma_i32_16x16x32_i8 v[176:179], a[78:79], v[126:127], v[176:179]// 000000004D28: D3D700B0 0EC2FD4E
	v_mfma_i32_16x16x32_i8 v[180:183], a[80:81], v[112:113], 0 // 000000004D30: D3D700B4 0A02E150
	buffer_load_dwordx4 a[120:123], v36, s[20:23], 0 offen offset:1024// 000000004D38: E05C1400 80857824
	v_mfma_i32_16x16x32_i8 v[180:183], a[82:83], v[114:115], v[180:183]// 000000004D40: D3D700B4 0ED2E552
	v_mfma_i32_16x16x32_i8 v[180:183], a[84:85], v[116:117], v[180:183]// 000000004D48: D3D700B4 0ED2E954
	v_mfma_i32_16x16x32_i8 v[180:183], a[86:87], v[118:119], v[180:183]// 000000004D50: D3D700B4 0ED2ED56
	v_mfma_i32_16x16x32_i8 v[180:183], a[88:89], v[120:121], v[180:183]// 000000004D58: D3D700B4 0ED2F158
	buffer_load_dwordx4 a[124:127], v37, s[20:23], 0 offen offset:1024// 000000004D60: E05C1400 80857C25
	v_mfma_i32_16x16x32_i8 v[180:183], a[90:91], v[122:123], v[180:183]// 000000004D68: D3D700B4 0ED2F55A
	v_mfma_i32_16x16x32_i8 v[180:183], a[92:93], v[124:125], v[180:183]// 000000004D70: D3D700B4 0ED2F95C
	s_lshr_b32 s57, s70, 4                                     // 000000004D78: 8F398446
	s_add_u32 s57, 48, s57                                     // 000000004D7C: 803939B0
	v_mfma_i32_16x16x32_i8 v[180:183], a[94:95], v[126:127], v[180:183]// 000000004D80: D3D700B4 0ED2FD5E
	s_cmp_ge_u32 s57, s73                                      // 000000004D88: BF094939
	s_cselect_b32 s56, 0, s56                                  // 000000004D8C: 85383880
	v_add_u32_e32 v1, s56, v1                                  // 000000004D90: 68020238
	s_addk_i32 s70, 0x100                                      // 000000004D94: B7460100
	s_cmp_lt_i32 s70, s71                                      // 000000004D98: BF044746
	s_cbranch_scc0 label_07F3                                  // 000000004D9C: BF84FD0B
	s_waitcnt vmcnt(8) lgkmcnt(0)                              // 000000004DA0: BF8C0078
	v_mul_u32_u24_dpp v64, v16, v54 row_newbcast:0 row_mask:0xf bank_mask:0xf// 000000004DA4: 10806CFA FF015010
	v_mul_u32_u24_dpp v65, v16, v54 row_newbcast:4 row_mask:0xf bank_mask:0xf// 000000004DAC: 10826CFA FF015410
	v_mul_u32_u24_dpp v66, v16, v54 row_newbcast:8 row_mask:0xf bank_mask:0xf// 000000004DB4: 10846CFA FF015810
	v_mul_u32_u24_dpp v67, v16, v54 row_newbcast:12 row_mask:0xf bank_mask:0xf// 000000004DBC: 10866CFA FF015C10
	v_add_u32_e32 v22, v64, v5                                 // 000000004DC4: 682C0B40
	v_add_u32_e32 v23, v65, v5                                 // 000000004DC8: 682E0B41
	v_add_u32_e32 v24, v66, v5                                 // 000000004DCC: 68300B42
	v_add_u32_e32 v25, v67, v5                                 // 000000004DD0: 68320B43
	v_mul_u32_u24_dpp v64, v16, v63 quad_perm:[0,0,0,0] row_mask:0xf bank_mask:0xf// 000000004DD4: 10807EFA FF000010
	v_add_u32_e32 v2, v64, v59                                 // 000000004DDC: 68047740
	v_mul_u32_u24_dpp v64, v16, v63 quad_perm:[0,0,0,0] row_mask:0xf bank_mask:0xf// 000000004DE0: 10807EFA FF000010
	v_add_u32_e32 v55, v64, v60                                // 000000004DE8: 686E7940
	v_mfma_i32_16x16x32_i8 v[112:115], a[32:33], v[80:81], 0   // 000000004DEC: D3D70070 0A02A120
	buffer_load_dwordx4 a[0:3], v22, s[16:19], 0 offen         // 000000004DF4: E05C1000 80840016
	v_mfma_i32_16x16x32_i8 v[112:115], a[34:35], v[82:83], v[112:115]// 000000004DFC: D3D70070 0DC2A522
	v_mfma_i32_16x16x32_i8 v[112:115], a[36:37], v[84:85], v[112:115]// 000000004E04: D3D70070 0DC2A924
	buffer_load_dword v17, v1, s[24:27], 0 offen               // 000000004E0C: E0501000 80061101
	v_mfma_i32_16x16x32_i8 v[112:115], a[38:39], v[86:87], v[112:115]// 000000004E14: D3D70070 0DC2AD26
	v_mfma_i32_16x16x32_i8 v[116:119], a[40:41], v[80:81], 0   // 000000004E1C: D3D70074 0A02A128
	buffer_load_dwordx4 a[4:7], v22, s[16:19], 0 offen offset:1024// 000000004E24: E05C1400 80840416
	v_mfma_i32_16x16x32_i8 v[116:119], a[42:43], v[82:83], v[116:119]// 000000004E2C: D3D70074 0DD2A52A
	v_mfma_i32_16x16x32_i8 v[116:119], a[44:45], v[84:85], v[116:119]// 000000004E34: D3D70074 0DD2A92C
	v_mfma_i32_16x16x32_i8 v[116:119], a[46:47], v[86:87], v[116:119]// 000000004E3C: D3D70074 0DD2AD2E
	v_mfma_i32_16x16x32_i8 v[120:123], a[48:49], v[80:81], 0   // 000000004E44: D3D70078 0A02A130
	buffer_load_dwordx4 a[8:11], v23, s[16:19], 0 offen        // 000000004E4C: E05C1000 80840817
	v_mfma_i32_16x16x32_i8 v[120:123], a[50:51], v[82:83], v[120:123]// 000000004E54: D3D70078 0DE2A532
	v_mfma_i32_16x16x32_i8 v[120:123], a[52:53], v[84:85], v[120:123]// 000000004E5C: D3D70078 0DE2A934
	v_mfma_i32_16x16x32_i8 v[120:123], a[54:55], v[86:87], v[120:123]// 000000004E64: D3D70078 0DE2AD36
	v_mfma_i32_16x16x32_i8 v[124:127], a[56:57], v[80:81], 0   // 000000004E6C: D3D7007C 0A02A138
	buffer_load_dwordx4 a[12:15], v23, s[16:19], 0 offen offset:1024// 000000004E74: E05C1400 80840C17
	v_mfma_i32_16x16x32_i8 v[124:127], a[58:59], v[82:83], v[124:127]// 000000004E7C: D3D7007C 0DF2A53A
	v_mfma_i32_16x16x32_i8 v[124:127], a[60:61], v[84:85], v[124:127]// 000000004E84: D3D7007C 0DF2A93C
	v_mfma_i32_16x16x32_i8 v[124:127], a[62:63], v[86:87], v[124:127]// 000000004E8C: D3D7007C 0DF2AD3E
	buffer_load_dword v42, v2, s[32:35], 0 offen               // 000000004E94: E0501000 80082A02
	v_mov_b32_dpp v64, v43 row_shr:4 row_mask:0xf bank_mask:0xf// 000000004E9C: 7E8002FA FF01142B
	v_mov_b32_dpp v65, v43 row_shl:4 row_mask:0xf bank_mask:0xf// 000000004EA4: 7E8202FA FF01042B
	v_cndmask_b32_e64 v248, v43, v64, s[44:45]                 // 000000004EAC: D10000F8 00B2812B
	v_cndmask_b32_e64 v249, v65, v43, s[44:45]                 // 000000004EB4: D10000F9 00B25741
	v_mov_b32_dpp v64, v248 row_shr:8 row_mask:0xf bank_mask:0xf// 000000004EBC: 7E8002FA FF0118F8
	v_mov_b32_dpp v65, v248 row_shl:8 row_mask:0xf bank_mask:0xf// 000000004EC4: 7E8202FA FF0108F8
	v_mov_b32_dpp v66, v249 row_shr:8 row_mask:0xf bank_mask:0xf// 000000004ECC: 7E8402FA FF0118F9
	v_mov_b32_dpp v67, v249 row_shl:8 row_mask:0xf bank_mask:0xf// 000000004ED4: 7E8602FA FF0108F9
	v_mov_b32_e32 v68, v248                                    // 000000004EDC: 7E8803F8
	v_mov_b32_e32 v69, v249                                    // 000000004EE0: 7E8A03F9
	v_cndmask_b32_e64 v248, v68, v64, s[42:43]                 // 000000004EE4: D10000F8 00AA8144
	v_cndmask_b32_e64 v250, v68, v65, s[78:79]                 // 000000004EEC: D10000FA 013A8344
	v_cndmask_b32_e64 v249, v69, v66, s[42:43]                 // 000000004EF4: D10000F9 00AA8545
	v_cndmask_b32_e64 v251, v69, v67, s[78:79]                 // 000000004EFC: D10000FB 013A8745
	v_mov_b32_dpp v64, v58 row_shr:4 row_mask:0xf bank_mask:0xf// 000000004F04: 7E8002FA FF01143A
	v_mov_b32_dpp v65, v58 row_shl:4 row_mask:0xf bank_mask:0xf// 000000004F0C: 7E8202FA FF01043A
	v_cndmask_b32_e64 v252, v58, v64, s[44:45]                 // 000000004F14: D10000FC 00B2813A
	v_cndmask_b32_e64 v253, v65, v58, s[44:45]                 // 000000004F1C: D10000FD 00B27541
	v_mov_b32_dpp v64, v252 row_shr:8 row_mask:0xf bank_mask:0xf// 000000004F24: 7E8002FA FF0118FC
	v_mov_b32_dpp v65, v252 row_shl:8 row_mask:0xf bank_mask:0xf// 000000004F2C: 7E8202FA FF0108FC
	v_mov_b32_dpp v66, v253 row_shr:8 row_mask:0xf bank_mask:0xf// 000000004F34: 7E8402FA FF0118FD
	v_mov_b32_dpp v67, v253 row_shl:8 row_mask:0xf bank_mask:0xf// 000000004F3C: 7E8602FA FF0108FD
	v_mov_b32_e32 v68, v252                                    // 000000004F44: 7E8803FC
	v_mov_b32_e32 v69, v253                                    // 000000004F48: 7E8A03FD
	v_cndmask_b32_e64 v252, v68, v64, s[42:43]                 // 000000004F4C: D10000FC 00AA8144
	v_cndmask_b32_e64 v254, v68, v65, s[78:79]                 // 000000004F54: D10000FE 013A8344
	v_cndmask_b32_e64 v253, v69, v66, s[42:43]                 // 000000004F5C: D10000FD 00AA8545
	v_cndmask_b32_e64 v255, v69, v67, s[78:79]                 // 000000004F64: D10000FF 013A8745
	buffer_load_dword v57, v55, s[36:39], 0 offen              // 000000004F6C: E0501000 80093937
	v_cvt_f32_i32_e32 v112, v112                               // 000000004F74: 7EE00B70
	v_cvt_f32_i32_e32 v113, v113                               // 000000004F78: 7EE20B71
	v_cvt_f32_i32_e32 v114, v114                               // 000000004F7C: 7EE40B72
	v_cvt_f32_i32_e32 v115, v115                               // 000000004F80: 7EE60B73
	v_cvt_f32_i32_e32 v116, v116                               // 000000004F84: 7EE80B74
	v_cvt_f32_i32_e32 v117, v117                               // 000000004F88: 7EEA0B75
	v_cvt_f32_i32_e32 v118, v118                               // 000000004F8C: 7EEC0B76
	v_cvt_f32_i32_e32 v119, v119                               // 000000004F90: 7EEE0B77
	v_cvt_f32_i32_e32 v120, v120                               // 000000004F94: 7EF00B78
	v_cvt_f32_i32_e32 v121, v121                               // 000000004F98: 7EF20B79
	v_cvt_f32_i32_e32 v122, v122                               // 000000004F9C: 7EF40B7A
	v_cvt_f32_i32_e32 v123, v123                               // 000000004FA0: 7EF60B7B
	v_cvt_f32_i32_e32 v124, v124                               // 000000004FA4: 7EF80B7C
	v_cvt_f32_i32_e32 v125, v125                               // 000000004FA8: 7EFA0B7D
	v_cvt_f32_i32_e32 v126, v126                               // 000000004FAC: 7EFC0B7E
	v_cvt_f32_i32_e32 v127, v127                               // 000000004FB0: 7EFE0B7F
	v_mul_f32_e32 v112, v18, v112                              // 000000004FB4: 0AE0E112
	v_mul_f32_e32 v113, v18, v113                              // 000000004FB8: 0AE2E312
	v_mul_f32_e32 v114, v18, v114                              // 000000004FBC: 0AE4E512
	v_mul_f32_e32 v115, v18, v115                              // 000000004FC0: 0AE6E712
	v_mul_f32_e32 v116, v18, v116                              // 000000004FC4: 0AE8E912
	v_mul_f32_e32 v117, v18, v117                              // 000000004FC8: 0AEAEB12
	v_mul_f32_e32 v118, v18, v118                              // 000000004FCC: 0AECED12
	v_mul_f32_e32 v119, v18, v119                              // 000000004FD0: 0AEEEF12
	v_mul_f32_e32 v120, v18, v120                              // 000000004FD4: 0AF0F112
	v_mul_f32_e32 v121, v18, v121                              // 000000004FD8: 0AF2F312
	v_mul_f32_e32 v122, v18, v122                              // 000000004FDC: 0AF4F512
	v_mul_f32_e32 v123, v18, v123                              // 000000004FE0: 0AF6F712
	v_mul_f32_e32 v124, v18, v124                              // 000000004FE4: 0AF8F912
	v_mul_f32_e32 v125, v18, v125                              // 000000004FE8: 0AFAFB12
	v_mul_f32_e32 v126, v18, v126                              // 000000004FEC: 0AFCFD12
	v_mul_f32_e32 v127, v18, v127                              // 000000004FF0: 0AFEFF12
	buffer_load_dwordx4 a[16:19], v24, s[16:19], 0 offen       // 000000004FF4: E05C1000 80841018
	v_mul_f32_dpp v112, v248, v112 quad_perm:[0,0,0,0] row_mask:0xf bank_mask:0xf// 000000004FFC: 0AE0E0FA FF0000F8
	v_mul_f32_dpp v113, v248, v113 quad_perm:[1,1,1,1] row_mask:0xf bank_mask:0xf// 000000005004: 0AE2E2FA FF0055F8
	v_mul_f32_dpp v114, v248, v114 quad_perm:[2,2,2,2] row_mask:0xf bank_mask:0xf// 00000000500C: 0AE4E4FA FF00AAF8
	v_mul_f32_dpp v115, v248, v115 quad_perm:[3,3,3,3] row_mask:0xf bank_mask:0xf// 000000005014: 0AE6E6FA FF00FFF8
	v_mul_f32_dpp v116, v249, v116 quad_perm:[0,0,0,0] row_mask:0xf bank_mask:0xf// 00000000501C: 0AE8E8FA FF0000F9
	v_mul_f32_dpp v117, v249, v117 quad_perm:[1,1,1,1] row_mask:0xf bank_mask:0xf// 000000005024: 0AEAEAFA FF0055F9
	v_mul_f32_dpp v118, v249, v118 quad_perm:[2,2,2,2] row_mask:0xf bank_mask:0xf// 00000000502C: 0AECECFA FF00AAF9
	v_mul_f32_dpp v119, v249, v119 quad_perm:[3,3,3,3] row_mask:0xf bank_mask:0xf// 000000005034: 0AEEEEFA FF00FFF9
	v_mul_f32_dpp v120, v250, v120 quad_perm:[0,0,0,0] row_mask:0xf bank_mask:0xf// 00000000503C: 0AF0F0FA FF0000FA
	v_mul_f32_dpp v121, v250, v121 quad_perm:[1,1,1,1] row_mask:0xf bank_mask:0xf// 000000005044: 0AF2F2FA FF0055FA
	v_mul_f32_dpp v122, v250, v122 quad_perm:[2,2,2,2] row_mask:0xf bank_mask:0xf// 00000000504C: 0AF4F4FA FF00AAFA
	v_mul_f32_dpp v123, v250, v123 quad_perm:[3,3,3,3] row_mask:0xf bank_mask:0xf// 000000005054: 0AF6F6FA FF00FFFA
	v_mul_f32_dpp v124, v251, v124 quad_perm:[0,0,0,0] row_mask:0xf bank_mask:0xf// 00000000505C: 0AF8F8FA FF0000FB
	v_mul_f32_dpp v125, v251, v125 quad_perm:[1,1,1,1] row_mask:0xf bank_mask:0xf// 000000005064: 0AFAFAFA FF0055FB
	v_mul_f32_dpp v126, v251, v126 quad_perm:[2,2,2,2] row_mask:0xf bank_mask:0xf// 00000000506C: 0AFCFCFA FF00AAFB
	v_mul_f32_dpp v127, v251, v127 quad_perm:[3,3,3,3] row_mask:0xf bank_mask:0xf// 000000005074: 0AFEFEFA FF00FFFB
	buffer_load_dwordx4 a[20:23], v24, s[16:19], 0 offen offset:1024// 00000000507C: E05C1400 80841418
	s_cmp_le_i32 s90, s89                                      // 000000005084: BF05595A
	s_cbranch_scc1 label_0C14                                  // 000000005088: BF850071
	v_mov_b32_e32 v66, 0xff800000                              // 00000000508C: 7E8402FF FF800000
	s_mov_b32 s60, s90                                         // 000000005094: BEBC005A
	s_add_u32 s61, s89, 0xff                                   // 000000005098: 803DFF59 000000FF
	v_mov_b32_e32 v64, s61                                     // 0000000050A0: 7E80023D
	v_lshrrev_b32_e32 v240, 4, v0                              // 0000000050A4: 21E00084
	v_mul_i32_i24_e32 v240, 4, v240                            // 0000000050A8: 0DE1E084
	v_add_u32_e32 v240, s60, v240                              // 0000000050AC: 69E1E03C
	s_mov_b32 s61, 0                                           // 0000000050B0: BEBD0080
	s_mul_i32 s60, 16, s7                                      // 0000000050B4: 923C0790
	v_sub_u32_e64 v240, v240, s61                              // 0000000050B8: D13500F0 00007BF0
	v_add_u32_e32 v240, s60, v240                              // 0000000050C0: 69E1E03C
	v_add_u32_e32 v241, 1, v240                                // 0000000050C4: 69E3E081
	v_add_u32_e32 v242, 2, v240                                // 0000000050C8: 69E5E082
	v_add_u32_e32 v243, 3, v240                                // 0000000050CC: 69E7E083
	v_cmp_le_u32_e64 s[40:41], v240, v64                       // 0000000050D0: D0CB0028 000281F0
	v_add_u32_e32 v240, 64, v240                               // 0000000050D8: 69E1E0C0
	s_nop 0                                                    // 0000000050DC: BF800000
	v_cndmask_b32_e64 v112, v66, v112, s[40:41]                // 0000000050E0: D1000070 00A2E142
	v_cmp_le_u32_e64 s[40:41], v241, v64                       // 0000000050E8: D0CB0028 000281F1
	v_add_u32_e32 v241, 64, v241                               // 0000000050F0: 69E3E2C0
	s_nop 0                                                    // 0000000050F4: BF800000
	v_cndmask_b32_e64 v113, v66, v113, s[40:41]                // 0000000050F8: D1000071 00A2E342
	v_cmp_le_u32_e64 s[40:41], v242, v64                       // 000000005100: D0CB0028 000281F2
	v_add_u32_e32 v242, 64, v242                               // 000000005108: 69E5E4C0
	s_nop 0                                                    // 00000000510C: BF800000
	v_cndmask_b32_e64 v114, v66, v114, s[40:41]                // 000000005110: D1000072 00A2E542
	v_cmp_le_u32_e64 s[40:41], v243, v64                       // 000000005118: D0CB0028 000281F3
	v_add_u32_e32 v243, 64, v243                               // 000000005120: 69E7E6C0
	s_nop 0                                                    // 000000005124: BF800000
	v_cndmask_b32_e64 v115, v66, v115, s[40:41]                // 000000005128: D1000073 00A2E742
	v_cmp_le_u32_e64 s[40:41], v240, v64                       // 000000005130: D0CB0028 000281F0
	v_add_u32_e32 v240, 64, v240                               // 000000005138: 69E1E0C0
	s_nop 0                                                    // 00000000513C: BF800000
	v_cndmask_b32_e64 v116, v66, v116, s[40:41]                // 000000005140: D1000074 00A2E942
	v_cmp_le_u32_e64 s[40:41], v241, v64                       // 000000005148: D0CB0028 000281F1
	v_add_u32_e32 v241, 64, v241                               // 000000005150: 69E3E2C0
	s_nop 0                                                    // 000000005154: BF800000
	v_cndmask_b32_e64 v117, v66, v117, s[40:41]                // 000000005158: D1000075 00A2EB42
	v_cmp_le_u32_e64 s[40:41], v242, v64                       // 000000005160: D0CB0028 000281F2
	v_add_u32_e32 v242, 64, v242                               // 000000005168: 69E5E4C0
	s_nop 0                                                    // 00000000516C: BF800000
	v_cndmask_b32_e64 v118, v66, v118, s[40:41]                // 000000005170: D1000076 00A2ED42
	v_cmp_le_u32_e64 s[40:41], v243, v64                       // 000000005178: D0CB0028 000281F3
	v_add_u32_e32 v243, 64, v243                               // 000000005180: 69E7E6C0
	s_nop 0                                                    // 000000005184: BF800000
	v_cndmask_b32_e64 v119, v66, v119, s[40:41]                // 000000005188: D1000077 00A2EF42
	v_cmp_le_u32_e64 s[40:41], v240, v64                       // 000000005190: D0CB0028 000281F0
	v_add_u32_e32 v240, 64, v240                               // 000000005198: 69E1E0C0
	s_nop 0                                                    // 00000000519C: BF800000
	v_cndmask_b32_e64 v120, v66, v120, s[40:41]                // 0000000051A0: D1000078 00A2F142
	v_cmp_le_u32_e64 s[40:41], v241, v64                       // 0000000051A8: D0CB0028 000281F1
	v_add_u32_e32 v241, 64, v241                               // 0000000051B0: 69E3E2C0
	s_nop 0                                                    // 0000000051B4: BF800000
	v_cndmask_b32_e64 v121, v66, v121, s[40:41]                // 0000000051B8: D1000079 00A2F342
	v_cmp_le_u32_e64 s[40:41], v242, v64                       // 0000000051C0: D0CB0028 000281F2
	v_add_u32_e32 v242, 64, v242                               // 0000000051C8: 69E5E4C0
	s_nop 0                                                    // 0000000051CC: BF800000
	v_cndmask_b32_e64 v122, v66, v122, s[40:41]                // 0000000051D0: D100007A 00A2F542
	v_cmp_le_u32_e64 s[40:41], v243, v64                       // 0000000051D8: D0CB0028 000281F3
	v_add_u32_e32 v243, 64, v243                               // 0000000051E0: 69E7E6C0
	s_nop 0                                                    // 0000000051E4: BF800000
	v_cndmask_b32_e64 v123, v66, v123, s[40:41]                // 0000000051E8: D100007B 00A2F742
	v_cmp_le_u32_e64 s[40:41], v240, v64                       // 0000000051F0: D0CB0028 000281F0
	v_add_u32_e32 v240, 64, v240                               // 0000000051F8: 69E1E0C0
	s_nop 0                                                    // 0000000051FC: BF800000
	v_cndmask_b32_e64 v124, v66, v124, s[40:41]                // 000000005200: D100007C 00A2F942
	v_cmp_le_u32_e64 s[40:41], v241, v64                       // 000000005208: D0CB0028 000281F1
	v_add_u32_e32 v241, 64, v241                               // 000000005210: 69E3E2C0
	s_nop 0                                                    // 000000005214: BF800000
	v_cndmask_b32_e64 v125, v66, v125, s[40:41]                // 000000005218: D100007D 00A2FB42
	v_cmp_le_u32_e64 s[40:41], v242, v64                       // 000000005220: D0CB0028 000281F2
	v_add_u32_e32 v242, 64, v242                               // 000000005228: 69E5E4C0
	s_nop 0                                                    // 00000000522C: BF800000
	v_cndmask_b32_e64 v126, v66, v126, s[40:41]                // 000000005230: D100007E 00A2FD42
	v_cmp_le_u32_e64 s[40:41], v243, v64                       // 000000005238: D0CB0028 000281F3
	v_add_u32_e32 v243, 64, v243                               // 000000005240: 69E7E6C0
	s_nop 0                                                    // 000000005244: BF800000
	v_cndmask_b32_e64 v127, v66, v127, s[40:41]                // 000000005248: D100007F 00A2FF42

0000000000005250 <label_0C14>:
	s_add_u32 s90, s91, s90                                    // 000000005250: 805A5A5B
	v_mov_b32_e32 v48, v112                                    // 000000005254: 7E600370
	v_max3_f32 v48, v112, v113, v48                            // 000000005258: D1D30030 04C2E370
	v_max3_f32 v48, v114, v115, v48                            // 000000005260: D1D30030 04C2E772
	v_max3_f32 v48, v116, v117, v48                            // 000000005268: D1D30030 04C2EB74
	v_max3_f32 v48, v118, v119, v48                            // 000000005270: D1D30030 04C2EF76
	v_max3_f32 v48, v120, v121, v48                            // 000000005278: D1D30030 04C2F378
	v_max3_f32 v48, v122, v123, v48                            // 000000005280: D1D30030 04C2F77A
	v_max3_f32 v48, v124, v125, v48                            // 000000005288: D1D30030 04C2FB7C
	v_max3_f32 v48, v126, v127, v48                            // 000000005290: D1D30030 04C2FF7E
	ds_write_b32 v8, v48 offset:16896                          // 000000005298: D81A4200 00003008
	buffer_load_dwordx4 a[24:27], v25, s[16:19], 0 offen       // 0000000052A0: E05C1000 80841819
	v_mul_u32_u24_dpp v64, v16, v54 row_newbcast:1 row_mask:0xf bank_mask:0xf// 0000000052A8: 10806CFA FF015110
	v_mul_u32_u24_dpp v65, v16, v54 row_newbcast:5 row_mask:0xf bank_mask:0xf// 0000000052B0: 10826CFA FF015510
	v_mul_u32_u24_dpp v66, v16, v54 row_newbcast:9 row_mask:0xf bank_mask:0xf// 0000000052B8: 10846CFA FF015910
	v_mul_u32_u24_dpp v67, v16, v54 row_newbcast:13 row_mask:0xf bank_mask:0xf// 0000000052C0: 10866CFA FF015D10
	v_add_u32_e32 v30, v64, v6                                 // 0000000052C8: 683C0D40
	v_add_u32_e32 v31, v65, v6                                 // 0000000052CC: 683E0D41
	v_add_u32_e32 v32, v66, v6                                 // 0000000052D0: 68400D42
	v_add_u32_e32 v33, v67, v6                                 // 0000000052D4: 68420D43
	v_mul_f32_e32 v208, v49, v208                              // 0000000052D8: 0BA1A131
	v_mul_f32_e32 v209, v49, v209                              // 0000000052DC: 0BA3A331
	v_mul_f32_e32 v210, v49, v210                              // 0000000052E0: 0BA5A531
	v_mul_f32_e32 v211, v49, v211                              // 0000000052E4: 0BA7A731
	v_mul_f32_e32 v212, v49, v212                              // 0000000052E8: 0BA9A931
	v_mul_f32_e32 v213, v49, v213                              // 0000000052EC: 0BABAB31
	v_mul_f32_e32 v214, v49, v214                              // 0000000052F0: 0BADAD31
	v_mul_f32_e32 v215, v49, v215                              // 0000000052F4: 0BAFAF31
	s_waitcnt lgkmcnt(0)                                       // 0000000052F8: BF8CC07F
	s_barrier                                                  // 0000000052FC: BF8A0000
	ds_read_b32 v64, v7 offset:16896                           // 000000005300: D86C4200 40000007
	ds_read_b32 v65, v7 offset:16960                           // 000000005308: D86C4240 41000007
	ds_read_b32 v66, v7 offset:17024                           // 000000005310: D86C4280 42000007
	ds_read_b32 v67, v7 offset:17088                           // 000000005318: D86C42C0 43000007
	ds_read_b32 v68, v7 offset:17152                           // 000000005320: D86C4300 44000007
	ds_read_b32 v69, v7 offset:17216                           // 000000005328: D86C4340 45000007
	ds_read_b32 v70, v7 offset:17280                           // 000000005330: D86C4380 46000007
	ds_read_b32 v71, v7 offset:17344                           // 000000005338: D86C43C0 47000007
	ds_read_b32 v72, v7 offset:17408                           // 000000005340: D86C4400 48000007
	ds_read_b32 v73, v7 offset:17472                           // 000000005348: D86C4440 49000007
	ds_read_b32 v74, v7 offset:17536                           // 000000005350: D86C4480 4A000007
	ds_read_b32 v75, v7 offset:17600                           // 000000005358: D86C44C0 4B000007
	ds_read_b32 v76, v7 offset:17664                           // 000000005360: D86C4500 4C000007
	ds_read_b32 v77, v7 offset:17728                           // 000000005368: D86C4540 4D000007
	ds_read_b32 v78, v7 offset:17792                           // 000000005370: D86C4580 4E000007
	ds_read_b32 v79, v7 offset:17856                           // 000000005378: D86C45C0 4F000007
	buffer_load_dwordx4 a[28:31], v25, s[16:19], 0 offen offset:1024// 000000005380: E05C1400 80841C19
	v_cvt_f32_i32_e32 v176, v176                               // 000000005388: 7F600BB0
	v_cvt_f32_i32_e32 v177, v177                               // 00000000538C: 7F620BB1
	v_cvt_f32_i32_e32 v178, v178                               // 000000005390: 7F640BB2
	v_cvt_f32_i32_e32 v179, v179                               // 000000005394: 7F660BB3
	v_cvt_f32_i32_e32 v180, v180                               // 000000005398: 7F680BB4
	v_cvt_f32_i32_e32 v181, v181                               // 00000000539C: 7F6A0BB5
	v_cvt_f32_i32_e32 v182, v182                               // 0000000053A0: 7F6C0BB6
	v_cvt_f32_i32_e32 v183, v183                               // 0000000053A4: 7F6E0BB7
	v_mul_f32_e32 v176, v44, v176                              // 0000000053A8: 0B61612C
	v_mul_f32_e32 v177, v44, v177                              // 0000000053AC: 0B63632C
	v_mul_f32_e32 v178, v44, v178                              // 0000000053B0: 0B65652C
	v_mul_f32_e32 v179, v44, v179                              // 0000000053B4: 0B67672C
	v_mul_f32_e32 v180, v44, v180                              // 0000000053B8: 0B69692C
	v_mul_f32_e32 v181, v44, v181                              // 0000000053BC: 0B6B6B2C
	v_mul_f32_e32 v182, v44, v182                              // 0000000053C0: 0B6D6D2C
	v_mul_f32_e32 v183, v44, v183                              // 0000000053C4: 0B6F6F2C
	s_waitcnt lgkmcnt(0)                                       // 0000000053C8: BF8CC07F
	v_max3_f32 v48, v64, v65, v48                              // 0000000053CC: D1D30030 04C28340
	v_max3_f32 v48, v66, v67, v48                              // 0000000053D4: D1D30030 04C28742
	v_max3_f32 v48, v68, v69, v48                              // 0000000053DC: D1D30030 04C28B44
	v_max3_f32 v48, v70, v71, v48                              // 0000000053E4: D1D30030 04C28F46
	v_max3_f32 v48, v72, v73, v48                              // 0000000053EC: D1D30030 04C29348
	v_max3_f32 v48, v74, v75, v48                              // 0000000053F4: D1D30030 04C2974A
	v_max3_f32 v48, v76, v77, v48                              // 0000000053FC: D1D30030 04C29B4C
	v_max3_f32 v48, v78, v79, v48                              // 000000005404: D1D30030 04C29F4E
	buffer_load_dwordx4 a[64:67], v30, s[20:23], 0 offen       // 00000000540C: E05C1000 8085401E
	v_mov_b32_e32 v64, 0xff800000                              // 000000005414: 7E8002FF FF800000
	v_cmp_eq_u32_e64 s[40:41], v64, v11                        // 00000000541C: D0CA0028 00021740
	s_nop 1                                                    // 000000005424: BF800001
	v_max_f32_e32 v15, v48, v11                                // 000000005428: 161E1730
	v_mul_f32_e32 v53, s64, v15                                // 00000000542C: 0A6A1E40
	v_fma_f32 v112, v112, s64, -v53                            // 000000005430: D1CB0070 84D48170
	v_fma_f32 v113, v113, s64, -v53                            // 000000005438: D1CB0071 84D48171
	v_fma_f32 v114, v114, s64, -v53                            // 000000005440: D1CB0072 84D48172
	v_fma_f32 v115, v115, s64, -v53                            // 000000005448: D1CB0073 84D48173
	v_fma_f32 v116, v116, s64, -v53                            // 000000005450: D1CB0074 84D48174
	v_fma_f32 v117, v117, s64, -v53                            // 000000005458: D1CB0075 84D48175
	v_fma_f32 v118, v118, s64, -v53                            // 000000005460: D1CB0076 84D48176
	v_fma_f32 v119, v119, s64, -v53                            // 000000005468: D1CB0077 84D48177
	v_fma_f32 v120, v120, s64, -v53                            // 000000005470: D1CB0078 84D48178
	v_fma_f32 v121, v121, s64, -v53                            // 000000005478: D1CB0079 84D48179
	v_fma_f32 v122, v122, s64, -v53                            // 000000005480: D1CB007A 84D4817A
	v_fma_f32 v123, v123, s64, -v53                            // 000000005488: D1CB007B 84D4817B
	v_fma_f32 v124, v124, s64, -v53                            // 000000005490: D1CB007C 84D4817C
	v_fma_f32 v125, v125, s64, -v53                            // 000000005498: D1CB007D 84D4817D
	v_fma_f32 v126, v126, s64, -v53                            // 0000000054A0: D1CB007E 84D4817E
	v_fma_f32 v127, v127, s64, -v53                            // 0000000054A8: D1CB007F 84D4817F
	buffer_load_dwordx4 a[68:71], v31, s[20:23], 0 offen       // 0000000054B0: E05C1000 8085441F
	v_exp_f32_e32 v112, v112                                   // 0000000054B8: 7EE04170
	v_exp_f32_e32 v113, v113                                   // 0000000054BC: 7EE24171
	v_exp_f32_e32 v114, v114                                   // 0000000054C0: 7EE44172
	v_exp_f32_e32 v115, v115                                   // 0000000054C4: 7EE64173
	v_exp_f32_e32 v116, v116                                   // 0000000054C8: 7EE84174
	v_exp_f32_e32 v117, v117                                   // 0000000054CC: 7EEA4175
	v_exp_f32_e32 v118, v118                                   // 0000000054D0: 7EEC4176
	v_exp_f32_e32 v119, v119                                   // 0000000054D4: 7EEE4177
	v_exp_f32_e32 v120, v120                                   // 0000000054D8: 7EF04178
	v_exp_f32_e32 v121, v121                                   // 0000000054DC: 7EF24179
	v_exp_f32_e32 v122, v122                                   // 0000000054E0: 7EF4417A
	v_exp_f32_e32 v123, v123                                   // 0000000054E4: 7EF6417B
	v_exp_f32_e32 v124, v124                                   // 0000000054E8: 7EF8417C
	v_exp_f32_e32 v125, v125                                   // 0000000054EC: 7EFA417D
	v_exp_f32_e32 v126, v126                                   // 0000000054F0: 7EFC417E
	v_exp_f32_e32 v127, v127                                   // 0000000054F4: 7EFE417F
	buffer_load_dwordx4 a[72:75], v32, s[20:23], 0 offen       // 0000000054F8: E05C1000 80854820
	v_mul_f32_dpp v240, v252, v112 quad_perm:[0,0,0,0] row_mask:0xf bank_mask:0xf// 000000005500: 0BE0E0FA FF0000FC
	v_mul_f32_dpp v241, v252, v113 quad_perm:[1,1,1,1] row_mask:0xf bank_mask:0xf// 000000005508: 0BE2E2FA FF0055FC
	v_mul_f32_dpp v242, v252, v114 quad_perm:[2,2,2,2] row_mask:0xf bank_mask:0xf// 000000005510: 0BE4E4FA FF00AAFC
	v_mul_f32_dpp v243, v252, v115 quad_perm:[3,3,3,3] row_mask:0xf bank_mask:0xf// 000000005518: 0BE6E6FA FF00FFFC
	v_mul_f32_dpp v244, v253, v116 quad_perm:[0,0,0,0] row_mask:0xf bank_mask:0xf// 000000005520: 0BE8E8FA FF0000FD
	v_mul_f32_dpp v245, v253, v117 quad_perm:[1,1,1,1] row_mask:0xf bank_mask:0xf// 000000005528: 0BEAEAFA FF0055FD
	v_mul_f32_dpp v246, v253, v118 quad_perm:[2,2,2,2] row_mask:0xf bank_mask:0xf// 000000005530: 0BECECFA FF00AAFD
	v_mul_f32_dpp v247, v253, v119 quad_perm:[3,3,3,3] row_mask:0xf bank_mask:0xf// 000000005538: 0BEEEEFA FF00FFFD
	v_mul_f32_dpp v248, v254, v120 quad_perm:[0,0,0,0] row_mask:0xf bank_mask:0xf// 000000005540: 0BF0F0FA FF0000FE
	v_mul_f32_dpp v249, v254, v121 quad_perm:[1,1,1,1] row_mask:0xf bank_mask:0xf// 000000005548: 0BF2F2FA FF0055FE
	v_mul_f32_dpp v250, v254, v122 quad_perm:[2,2,2,2] row_mask:0xf bank_mask:0xf// 000000005550: 0BF4F4FA FF00AAFE
	v_mul_f32_dpp v251, v254, v123 quad_perm:[3,3,3,3] row_mask:0xf bank_mask:0xf// 000000005558: 0BF6F6FA FF00FFFE
	v_mul_f32_dpp v252, v255, v124 quad_perm:[0,0,0,0] row_mask:0xf bank_mask:0xf// 000000005560: 0BF8F8FA FF0000FF
	v_mul_f32_dpp v253, v255, v125 quad_perm:[1,1,1,1] row_mask:0xf bank_mask:0xf// 000000005568: 0BFAFAFA FF0055FF
	v_mul_f32_dpp v254, v255, v126 quad_perm:[2,2,2,2] row_mask:0xf bank_mask:0xf// 000000005570: 0BFCFCFA FF00AAFF
	v_mul_f32_dpp v255, v255, v127 quad_perm:[3,3,3,3] row_mask:0xf bank_mask:0xf// 000000005578: 0BFEFEFA FF00FFFF
	v_mov_b32_e32 v48, 0x358637bd                              // 000000005580: 7E6002FF 358637BD
	v_max3_f32 v48, |v240|, |v241|, v48                        // 000000005588: D1D30330 04C3E3F0
	v_max3_f32 v48, |v242|, |v243|, v48                        // 000000005590: D1D30330 04C3E7F2
	v_max3_f32 v48, |v244|, |v245|, v48                        // 000000005598: D1D30330 04C3EBF4
	v_max3_f32 v48, |v246|, |v247|, v48                        // 0000000055A0: D1D30330 04C3EFF6
	v_max3_f32 v48, |v248|, |v249|, v48                        // 0000000055A8: D1D30330 04C3F3F8
	v_max3_f32 v48, |v250|, |v251|, v48                        // 0000000055B0: D1D30330 04C3F7FA
	v_max3_f32 v48, |v252|, |v253|, v48                        // 0000000055B8: D1D30330 04C3FBFC
	v_max3_f32 v48, |v254|, |v255|, v48                        // 0000000055C0: D1D30330 04C3FFFE
	buffer_load_dwordx4 a[76:79], v33, s[20:23], 0 offen       // 0000000055C8: E05C1000 80854C21
	ds_write_b32 v8, v48 offset:20992                          // 0000000055D0: D81A5200 00003008
	v_sub_f32_e32 v49, v11, v15                                // 0000000055D8: 04621F0B
	v_cndmask_b32_e64 v49, v49, 0, s[40:41]                    // 0000000055DC: D1000031 00A10131
	v_mov_b32_e32 v11, v15                                     // 0000000055E4: 7E16030F
	v_mul_f32_e32 v49, s64, v49                                // 0000000055E8: 0A626240
	v_exp_f32_e32 v49, v49                                     // 0000000055EC: 7E624131
	s_waitcnt lgkmcnt(0)                                       // 0000000055F0: BF8CC07F
	s_barrier                                                  // 0000000055F4: BF8A0000
	ds_read_b32 v64, v7 offset:20992                           // 0000000055F8: D86C5200 40000007
	ds_read_b32 v65, v7 offset:21056                           // 000000005600: D86C5240 41000007
	ds_read_b32 v66, v7 offset:21120                           // 000000005608: D86C5280 42000007
	ds_read_b32 v67, v7 offset:21184                           // 000000005610: D86C52C0 43000007
	ds_read_b32 v68, v7 offset:21248                           // 000000005618: D86C5300 44000007
	ds_read_b32 v69, v7 offset:21312                           // 000000005620: D86C5340 45000007
	ds_read_b32 v70, v7 offset:21376                           // 000000005628: D86C5380 46000007
	ds_read_b32 v71, v7 offset:21440                           // 000000005630: D86C53C0 47000007
	ds_read_b32 v72, v7 offset:21504                           // 000000005638: D86C5400 48000007
	ds_read_b32 v73, v7 offset:21568                           // 000000005640: D86C5440 49000007
	ds_read_b32 v74, v7 offset:21632                           // 000000005648: D86C5480 4A000007
	ds_read_b32 v75, v7 offset:21696                           // 000000005650: D86C54C0 4B000007
	ds_read_b32 v76, v7 offset:21760                           // 000000005658: D86C5500 4C000007
	ds_read_b32 v77, v7 offset:21824                           // 000000005660: D86C5540 4D000007
	ds_read_b32 v78, v7 offset:21888                           // 000000005668: D86C5580 4E000007
	ds_read_b32 v79, v7 offset:21952                           // 000000005670: D86C55C0 4F000007
	v_mul_f32_e32 v38, v49, v38                                // 000000005678: 0A4C4D31
	v_mov_b32_e32 v15, v112                                    // 00000000567C: 7E1E0370
	v_add_f32_e32 v15, v113, v15                               // 000000005680: 021E1F71
	v_add_f32_e32 v15, v114, v15                               // 000000005684: 021E1F72
	v_add_f32_e32 v15, v115, v15                               // 000000005688: 021E1F73
	v_add_f32_e32 v15, v116, v15                               // 00000000568C: 021E1F74
	v_add_f32_e32 v15, v117, v15                               // 000000005690: 021E1F75
	v_add_f32_e32 v15, v118, v15                               // 000000005694: 021E1F76
	v_add_f32_e32 v15, v119, v15                               // 000000005698: 021E1F77
	v_add_f32_e32 v15, v120, v15                               // 00000000569C: 021E1F78
	v_add_f32_e32 v15, v121, v15                               // 0000000056A0: 021E1F79
	v_add_f32_e32 v15, v122, v15                               // 0000000056A4: 021E1F7A
	v_add_f32_e32 v15, v123, v15                               // 0000000056A8: 021E1F7B
	v_add_f32_e32 v15, v124, v15                               // 0000000056AC: 021E1F7C
	v_add_f32_e32 v15, v125, v15                               // 0000000056B0: 021E1F7D
	v_add_f32_e32 v15, v126, v15                               // 0000000056B4: 021E1F7E
	v_add_f32_e32 v15, v127, v15                               // 0000000056B8: 021E1F7F
	v_add_f32_e32 v38, v15, v38                                // 0000000056BC: 024C4D0F
	s_waitcnt lgkmcnt(0)                                       // 0000000056C0: BF8CC07F
	v_max3_f32 v48, |v64|, |v65|, v48                          // 0000000056C4: D1D30330 04C28340
	v_max3_f32 v48, |v66|, |v67|, v48                          // 0000000056CC: D1D30330 04C28742
	v_max3_f32 v48, |v68|, |v69|, v48                          // 0000000056D4: D1D30330 04C28B44
	v_max3_f32 v48, |v70|, |v71|, v48                          // 0000000056DC: D1D30330 04C28F46
	v_max3_f32 v48, |v72|, |v73|, v48                          // 0000000056E4: D1D30330 04C29348
	v_max3_f32 v48, |v74|, |v75|, v48                          // 0000000056EC: D1D30330 04C2974A
	v_max3_f32 v48, |v76|, |v77|, v48                          // 0000000056F4: D1D30330 04C29B4C
	v_max3_f32 v48, |v78|, |v79|, v48                          // 0000000056FC: D1D30330 04C29F4E
	s_nop 2                                                    // 000000005704: BF800002
	v_rcp_f32_e32 v48, v48                                     // 000000005708: 7E604530
	s_nop 1                                                    // 00000000570C: BF800001
	v_mul_f32_e32 v48, 0x42fe0000, v48                         // 000000005710: 0A6060FF 42FE0000
	v_mul_f32_e32 v112, v48, v240                              // 000000005718: 0AE1E130
	v_mul_f32_e32 v113, v48, v241                              // 00000000571C: 0AE3E330
	v_mul_f32_e32 v114, v48, v242                              // 000000005720: 0AE5E530
	v_mul_f32_e32 v115, v48, v243                              // 000000005724: 0AE7E730
	v_mul_f32_e32 v116, v48, v244                              // 000000005728: 0AE9E930
	v_mul_f32_e32 v117, v48, v245                              // 00000000572C: 0AEBEB30
	v_mul_f32_e32 v118, v48, v246                              // 000000005730: 0AEDED30
	v_mul_f32_e32 v119, v48, v247                              // 000000005734: 0AEFEF30
	v_mul_f32_e32 v120, v48, v248                              // 000000005738: 0AF1F130
	v_mul_f32_e32 v121, v48, v249                              // 00000000573C: 0AF3F330
	v_mul_f32_e32 v122, v48, v250                              // 000000005740: 0AF5F530
	v_mul_f32_e32 v123, v48, v251                              // 000000005744: 0AF7F730
	v_mul_f32_e32 v124, v48, v252                              // 000000005748: 0AF9F930
	v_mul_f32_e32 v125, v48, v253                              // 00000000574C: 0AFBFB30
	v_mul_f32_e32 v126, v48, v254                              // 000000005750: 0AFDFD30
	v_mul_f32_e32 v127, v48, v255                              // 000000005754: 0AFFFF30
	v_cvt_i32_f32_e32 v112, v112                               // 000000005758: 7EE01170
	v_cvt_i32_f32_e32 v113, v113                               // 00000000575C: 7EE21171
	v_cvt_i32_f32_e32 v114, v114                               // 000000005760: 7EE41172
	v_cvt_i32_f32_e32 v115, v115                               // 000000005764: 7EE61173
	v_cvt_i32_f32_e32 v116, v116                               // 000000005768: 7EE81174
	v_cvt_i32_f32_e32 v117, v117                               // 00000000576C: 7EEA1175
	v_cvt_i32_f32_e32 v118, v118                               // 000000005770: 7EEC1176
	v_cvt_i32_f32_e32 v119, v119                               // 000000005774: 7EEE1177
	v_cvt_i32_f32_e32 v120, v120                               // 000000005778: 7EF01178
	v_cvt_i32_f32_e32 v121, v121                               // 00000000577C: 7EF21179
	v_cvt_i32_f32_e32 v122, v122                               // 000000005780: 7EF4117A
	v_cvt_i32_f32_e32 v123, v123                               // 000000005784: 7EF6117B
	v_cvt_i32_f32_e32 v124, v124                               // 000000005788: 7EF8117C
	v_cvt_i32_f32_e32 v125, v125                               // 00000000578C: 7EFA117D
	v_cvt_i32_f32_e32 v126, v126                               // 000000005790: 7EFC117E
	v_cvt_i32_f32_e32 v127, v127                               // 000000005794: 7EFE117F
	v_perm_b32 v112, v113, v112, s53                           // 000000005798: D1ED0070 00D6E171
	v_perm_b32 v112, v114, v112, s54                           // 0000000057A0: D1ED0070 00DAE172
	v_perm_b32 v112, v115, v112, s55                           // 0000000057A8: D1ED0070 00DEE173
	v_perm_b32 v113, v117, v116, s53                           // 0000000057B0: D1ED0071 00D6E975
	v_perm_b32 v113, v118, v113, s54                           // 0000000057B8: D1ED0071 00DAE376
	v_perm_b32 v113, v119, v113, s55                           // 0000000057C0: D1ED0071 00DEE377
	v_perm_b32 v114, v121, v120, s53                           // 0000000057C8: D1ED0072 00D6F179
	v_perm_b32 v114, v122, v114, s54                           // 0000000057D0: D1ED0072 00DAE57A
	v_perm_b32 v114, v123, v114, s55                           // 0000000057D8: D1ED0072 00DEE57B
	v_perm_b32 v115, v125, v124, s53                           // 0000000057E0: D1ED0073 00D6F97D
	v_perm_b32 v115, v126, v115, s54                           // 0000000057E8: D1ED0073 00DAE77E
	v_perm_b32 v115, v127, v115, s55                           // 0000000057F0: D1ED0073 00DEE77F
	ds_write_b32 v10, v112 offset:25088                        // 0000000057F8: D81A6200 0000700A
	ds_write_b32 v10, v113 offset:26112                        // 000000005800: D81A6600 0000710A
	ds_write_b32 v10, v114 offset:27136                        // 000000005808: D81A6A00 0000720A
	ds_write_b32 v10, v115 offset:28160                        // 000000005810: D81A6E00 0000730A
	v_add_f32_e32 v208, v208, v176                             // 000000005818: 03A161D0
	v_add_f32_e32 v209, v209, v177                             // 00000000581C: 03A363D1
	v_add_f32_e32 v210, v210, v178                             // 000000005820: 03A565D2
	v_add_f32_e32 v211, v211, v179                             // 000000005824: 03A767D3
	v_add_f32_e32 v212, v212, v180                             // 000000005828: 03A969D4
	v_add_f32_e32 v213, v213, v181                             // 00000000582C: 03AB6BD5
	v_add_f32_e32 v214, v214, v182                             // 000000005830: 03AD6DD6
	v_add_f32_e32 v215, v215, v183                             // 000000005834: 03AF6FD7
	v_rcp_f32_e32 v44, v48                                     // 000000005838: 7E584530
	s_waitcnt lgkmcnt(0)                                       // 00000000583C: BF8CC07F
	s_barrier                                                  // 000000005840: BF8A0000
	ds_read_b64 v[112:113], v9 offset:25088                    // 000000005844: D8EC6200 70000009
	ds_read_b64 v[114:115], v9 offset:25216                    // 00000000584C: D8EC6280 72000009
	ds_read_b64 v[116:117], v9 offset:26112                    // 000000005854: D8EC6600 74000009
	ds_read_b64 v[118:119], v9 offset:26240                    // 00000000585C: D8EC6680 76000009
	ds_read_b64 v[120:121], v9 offset:27136                    // 000000005864: D8EC6A00 78000009
	ds_read_b64 v[122:123], v9 offset:27264                    // 00000000586C: D8EC6A80 7A000009
	ds_read_b64 v[124:125], v9 offset:28160                    // 000000005874: D8EC6E00 7C000009
	ds_read_b64 v[126:127], v9 offset:28288                    // 00000000587C: D8EC6E80 7E000009
	s_waitcnt vmcnt(15)                                        // 000000005884: BF8C0F7F
	s_waitcnt lgkmcnt(7)                                       // 000000005888: BF8CC77F
	v_mfma_i32_16x16x32_i8 v[176:179], a[96:97], v[112:113], 0 // 00000000588C: D3D700B0 0A02E160
	buffer_load_dwordx4 a[80:83], v30, s[20:23], 0 offen offset:1024// 000000005894: E05C1400 8085501E
	s_waitcnt lgkmcnt(6)                                       // 00000000589C: BF8CC67F
	v_mfma_i32_16x16x32_i8 v[176:179], a[98:99], v[114:115], v[176:179]// 0000000058A0: D3D700B0 0EC2E562
	s_waitcnt lgkmcnt(5)                                       // 0000000058A8: BF8CC57F
	v_mfma_i32_16x16x32_i8 v[176:179], a[100:101], v[116:117], v[176:179]// 0000000058AC: D3D700B0 0EC2E964
	s_waitcnt lgkmcnt(4)                                       // 0000000058B4: BF8CC47F
	v_mfma_i32_16x16x32_i8 v[176:179], a[102:103], v[118:119], v[176:179]// 0000000058B8: D3D700B0 0EC2ED66
	s_waitcnt lgkmcnt(3)                                       // 0000000058C0: BF8CC37F
	v_mfma_i32_16x16x32_i8 v[176:179], a[104:105], v[120:121], v[176:179]// 0000000058C4: D3D700B0 0EC2F168
	buffer_load_dwordx4 a[84:87], v31, s[20:23], 0 offen offset:1024// 0000000058CC: E05C1400 8085541F
	s_waitcnt lgkmcnt(2)                                       // 0000000058D4: BF8CC27F
	v_mfma_i32_16x16x32_i8 v[176:179], a[106:107], v[122:123], v[176:179]// 0000000058D8: D3D700B0 0EC2F56A
	s_waitcnt lgkmcnt(1)                                       // 0000000058E0: BF8CC17F
	v_mfma_i32_16x16x32_i8 v[176:179], a[108:109], v[124:125], v[176:179]// 0000000058E4: D3D700B0 0EC2F96C
	s_waitcnt lgkmcnt(0)                                       // 0000000058EC: BF8CC07F
	v_mfma_i32_16x16x32_i8 v[176:179], a[110:111], v[126:127], v[176:179]// 0000000058F0: D3D700B0 0EC2FD6E
	v_mfma_i32_16x16x32_i8 v[180:183], a[112:113], v[112:113], 0// 0000000058F8: D3D700B4 0A02E170
	buffer_load_dwordx4 a[88:91], v32, s[20:23], 0 offen offset:1024// 000000005900: E05C1400 80855820
	v_mfma_i32_16x16x32_i8 v[180:183], a[114:115], v[114:115], v[180:183]// 000000005908: D3D700B4 0ED2E572
	v_mfma_i32_16x16x32_i8 v[180:183], a[116:117], v[116:117], v[180:183]// 000000005910: D3D700B4 0ED2E974
	v_mfma_i32_16x16x32_i8 v[180:183], a[118:119], v[118:119], v[180:183]// 000000005918: D3D700B4 0ED2ED76
	v_mfma_i32_16x16x32_i8 v[180:183], a[120:121], v[120:121], v[180:183]// 000000005920: D3D700B4 0ED2F178
	buffer_load_dwordx4 a[92:95], v33, s[20:23], 0 offen offset:1024// 000000005928: E05C1400 80855C21
	v_mfma_i32_16x16x32_i8 v[180:183], a[122:123], v[122:123], v[180:183]// 000000005930: D3D700B4 0ED2F57A
	v_mfma_i32_16x16x32_i8 v[180:183], a[124:125], v[124:125], v[180:183]// 000000005938: D3D700B4 0ED2F97C
	s_lshr_b32 s57, s70, 4                                     // 000000005940: 8F398446
	s_add_u32 s57, 48, s57                                     // 000000005944: 803939B0
	v_mfma_i32_16x16x32_i8 v[180:183], a[126:127], v[126:127], v[180:183]// 000000005948: D3D700B4 0ED2FD7E
	s_cmp_ge_u32 s57, s73                                      // 000000005950: BF094939
	s_cselect_b32 s56, 0, s56                                  // 000000005954: 85383880
	v_add_u32_e32 v1, s56, v1                                  // 000000005958: 68020238
	s_addk_i32 s70, 0x100                                      // 00000000595C: B7460100
	s_cmp_lt_i32 s70, s71                                      // 000000005960: BF044746
	s_cbranch_scc0 label_07F3                                  // 000000005964: BF84FA19
	s_branch label_07F6                                        // 000000005968: BF82FA1B

000000000000596c <label_0DDB>:
	s_lshr_b32 s60, s71, 4                                     // 00000000596C: 8F3C8447
	s_cmp_eq_i32 s60, s73                                      // 000000005970: BF00493C
	s_cbranch_scc1 label_1426                                  // 000000005974: BF850648
	s_lshr_b32 s60, s71, 8                                     // 000000005978: 8F3C8847
	s_and_b32 s60, s60, 1                                      // 00000000597C: 863C813C
	s_cmp_eq_i32 s60, 1                                        // 000000005980: BF00813C
	s_cbranch_scc1 label_1104                                  // 000000005984: BF850322
	s_waitcnt vmcnt(8) lgkmcnt(0)                              // 000000005988: BF8C0078
	s_barrier                                                  // 00000000598C: BF8A0000
	v_mfma_i32_16x16x32_i8 v[112:115], a[0:1], v[80:81], 0     // 000000005990: D3D70070 0A02A100
	v_mfma_i32_16x16x32_i8 v[112:115], a[2:3], v[82:83], v[112:115]// 000000005998: D3D70070 0DC2A502
	v_mfma_i32_16x16x32_i8 v[112:115], a[4:5], v[84:85], v[112:115]// 0000000059A0: D3D70070 0DC2A904
	v_mfma_i32_16x16x32_i8 v[112:115], a[6:7], v[86:87], v[112:115]// 0000000059A8: D3D70070 0DC2AD06
	v_mfma_i32_16x16x32_i8 v[116:119], a[8:9], v[80:81], 0     // 0000000059B0: D3D70074 0A02A108
	v_mfma_i32_16x16x32_i8 v[116:119], a[10:11], v[82:83], v[116:119]// 0000000059B8: D3D70074 0DD2A50A
	v_mfma_i32_16x16x32_i8 v[116:119], a[12:13], v[84:85], v[116:119]// 0000000059C0: D3D70074 0DD2A90C
	v_mfma_i32_16x16x32_i8 v[116:119], a[14:15], v[86:87], v[116:119]// 0000000059C8: D3D70074 0DD2AD0E
	v_mfma_i32_16x16x32_i8 v[120:123], a[16:17], v[80:81], 0   // 0000000059D0: D3D70078 0A02A110
	v_mfma_i32_16x16x32_i8 v[120:123], a[18:19], v[82:83], v[120:123]// 0000000059D8: D3D70078 0DE2A512
	v_mfma_i32_16x16x32_i8 v[120:123], a[20:21], v[84:85], v[120:123]// 0000000059E0: D3D70078 0DE2A914
	v_mfma_i32_16x16x32_i8 v[120:123], a[22:23], v[86:87], v[120:123]// 0000000059E8: D3D70078 0DE2AD16
	v_mfma_i32_16x16x32_i8 v[124:127], a[24:25], v[80:81], 0   // 0000000059F0: D3D7007C 0A02A118
	v_mfma_i32_16x16x32_i8 v[124:127], a[26:27], v[82:83], v[124:127]// 0000000059F8: D3D7007C 0DF2A51A
	v_mfma_i32_16x16x32_i8 v[124:127], a[28:29], v[84:85], v[124:127]// 000000005A00: D3D7007C 0DF2A91C
	v_mfma_i32_16x16x32_i8 v[124:127], a[30:31], v[86:87], v[124:127]// 000000005A08: D3D7007C 0DF2AD1E
	v_mov_b32_dpp v64, v42 row_shr:4 row_mask:0xf bank_mask:0xf// 000000005A10: 7E8002FA FF01142A
	v_mov_b32_dpp v65, v42 row_shl:4 row_mask:0xf bank_mask:0xf// 000000005A18: 7E8202FA FF01042A
	v_cndmask_b32_e64 v248, v42, v64, s[44:45]                 // 000000005A20: D10000F8 00B2812A
	v_cndmask_b32_e64 v249, v65, v42, s[44:45]                 // 000000005A28: D10000F9 00B25541
	v_mov_b32_dpp v64, v248 row_shr:8 row_mask:0xf bank_mask:0xf// 000000005A30: 7E8002FA FF0118F8
	v_mov_b32_dpp v65, v248 row_shl:8 row_mask:0xf bank_mask:0xf// 000000005A38: 7E8202FA FF0108F8
	v_mov_b32_dpp v66, v249 row_shr:8 row_mask:0xf bank_mask:0xf// 000000005A40: 7E8402FA FF0118F9
	v_mov_b32_dpp v67, v249 row_shl:8 row_mask:0xf bank_mask:0xf// 000000005A48: 7E8602FA FF0108F9
	v_mov_b32_e32 v68, v248                                    // 000000005A50: 7E8803F8
	v_mov_b32_e32 v69, v249                                    // 000000005A54: 7E8A03F9
	v_cndmask_b32_e64 v248, v68, v64, s[42:43]                 // 000000005A58: D10000F8 00AA8144
	v_cndmask_b32_e64 v250, v68, v65, s[78:79]                 // 000000005A60: D10000FA 013A8344
	v_cndmask_b32_e64 v249, v69, v66, s[42:43]                 // 000000005A68: D10000F9 00AA8545
	v_cndmask_b32_e64 v251, v69, v67, s[78:79]                 // 000000005A70: D10000FB 013A8745
	v_mov_b32_dpp v64, v57 row_shr:4 row_mask:0xf bank_mask:0xf// 000000005A78: 7E8002FA FF011439
	v_mov_b32_dpp v65, v57 row_shl:4 row_mask:0xf bank_mask:0xf// 000000005A80: 7E8202FA FF010439
	v_cndmask_b32_e64 v252, v57, v64, s[44:45]                 // 000000005A88: D10000FC 00B28139
	v_cndmask_b32_e64 v253, v65, v57, s[44:45]                 // 000000005A90: D10000FD 00B27341
	v_mov_b32_dpp v64, v252 row_shr:8 row_mask:0xf bank_mask:0xf// 000000005A98: 7E8002FA FF0118FC
	v_mov_b32_dpp v65, v252 row_shl:8 row_mask:0xf bank_mask:0xf// 000000005AA0: 7E8202FA FF0108FC
	v_mov_b32_dpp v66, v253 row_shr:8 row_mask:0xf bank_mask:0xf// 000000005AA8: 7E8402FA FF0118FD
	v_mov_b32_dpp v67, v253 row_shl:8 row_mask:0xf bank_mask:0xf// 000000005AB0: 7E8602FA FF0108FD
	v_mov_b32_e32 v68, v252                                    // 000000005AB8: 7E8803FC
	v_mov_b32_e32 v69, v253                                    // 000000005ABC: 7E8A03FD
	v_cndmask_b32_e64 v252, v68, v64, s[42:43]                 // 000000005AC0: D10000FC 00AA8144
	v_cndmask_b32_e64 v254, v68, v65, s[78:79]                 // 000000005AC8: D10000FE 013A8344
	v_cndmask_b32_e64 v253, v69, v66, s[42:43]                 // 000000005AD0: D10000FD 00AA8545
	v_cndmask_b32_e64 v255, v69, v67, s[78:79]                 // 000000005AD8: D10000FF 013A8745
	v_cvt_f32_i32_e32 v112, v112                               // 000000005AE0: 7EE00B70
	v_cvt_f32_i32_e32 v113, v113                               // 000000005AE4: 7EE20B71
	v_cvt_f32_i32_e32 v114, v114                               // 000000005AE8: 7EE40B72
	v_cvt_f32_i32_e32 v115, v115                               // 000000005AEC: 7EE60B73
	v_cvt_f32_i32_e32 v116, v116                               // 000000005AF0: 7EE80B74
	v_cvt_f32_i32_e32 v117, v117                               // 000000005AF4: 7EEA0B75
	v_cvt_f32_i32_e32 v118, v118                               // 000000005AF8: 7EEC0B76
	v_cvt_f32_i32_e32 v119, v119                               // 000000005AFC: 7EEE0B77
	v_cvt_f32_i32_e32 v120, v120                               // 000000005B00: 7EF00B78
	v_cvt_f32_i32_e32 v121, v121                               // 000000005B04: 7EF20B79
	v_cvt_f32_i32_e32 v122, v122                               // 000000005B08: 7EF40B7A
	v_cvt_f32_i32_e32 v123, v123                               // 000000005B0C: 7EF60B7B
	v_cvt_f32_i32_e32 v124, v124                               // 000000005B10: 7EF80B7C
	v_cvt_f32_i32_e32 v125, v125                               // 000000005B14: 7EFA0B7D
	v_cvt_f32_i32_e32 v126, v126                               // 000000005B18: 7EFC0B7E
	v_cvt_f32_i32_e32 v127, v127                               // 000000005B1C: 7EFE0B7F
	v_mul_f32_e32 v112, v18, v112                              // 000000005B20: 0AE0E112
	v_mul_f32_e32 v113, v18, v113                              // 000000005B24: 0AE2E312
	v_mul_f32_e32 v114, v18, v114                              // 000000005B28: 0AE4E512
	v_mul_f32_e32 v115, v18, v115                              // 000000005B2C: 0AE6E712
	v_mul_f32_e32 v116, v18, v116                              // 000000005B30: 0AE8E912
	v_mul_f32_e32 v117, v18, v117                              // 000000005B34: 0AEAEB12
	v_mul_f32_e32 v118, v18, v118                              // 000000005B38: 0AECED12
	v_mul_f32_e32 v119, v18, v119                              // 000000005B3C: 0AEEEF12
	v_mul_f32_e32 v120, v18, v120                              // 000000005B40: 0AF0F112
	v_mul_f32_e32 v121, v18, v121                              // 000000005B44: 0AF2F312
	v_mul_f32_e32 v122, v18, v122                              // 000000005B48: 0AF4F512
	v_mul_f32_e32 v123, v18, v123                              // 000000005B4C: 0AF6F712
	v_mul_f32_e32 v124, v18, v124                              // 000000005B50: 0AF8F912
	v_mul_f32_e32 v125, v18, v125                              // 000000005B54: 0AFAFB12
	v_mul_f32_e32 v126, v18, v126                              // 000000005B58: 0AFCFD12
	v_mul_f32_e32 v127, v18, v127                              // 000000005B5C: 0AFEFF12
	v_mul_f32_dpp v112, v248, v112 quad_perm:[0,0,0,0] row_mask:0xf bank_mask:0xf// 000000005B60: 0AE0E0FA FF0000F8
	v_mul_f32_dpp v113, v248, v113 quad_perm:[1,1,1,1] row_mask:0xf bank_mask:0xf// 000000005B68: 0AE2E2FA FF0055F8
	v_mul_f32_dpp v114, v248, v114 quad_perm:[2,2,2,2] row_mask:0xf bank_mask:0xf// 000000005B70: 0AE4E4FA FF00AAF8
	v_mul_f32_dpp v115, v248, v115 quad_perm:[3,3,3,3] row_mask:0xf bank_mask:0xf// 000000005B78: 0AE6E6FA FF00FFF8
	v_mul_f32_dpp v116, v249, v116 quad_perm:[0,0,0,0] row_mask:0xf bank_mask:0xf// 000000005B80: 0AE8E8FA FF0000F9
	v_mul_f32_dpp v117, v249, v117 quad_perm:[1,1,1,1] row_mask:0xf bank_mask:0xf// 000000005B88: 0AEAEAFA FF0055F9
	v_mul_f32_dpp v118, v249, v118 quad_perm:[2,2,2,2] row_mask:0xf bank_mask:0xf// 000000005B90: 0AECECFA FF00AAF9
	v_mul_f32_dpp v119, v249, v119 quad_perm:[3,3,3,3] row_mask:0xf bank_mask:0xf// 000000005B98: 0AEEEEFA FF00FFF9
	v_mul_f32_dpp v120, v250, v120 quad_perm:[0,0,0,0] row_mask:0xf bank_mask:0xf// 000000005BA0: 0AF0F0FA FF0000FA
	v_mul_f32_dpp v121, v250, v121 quad_perm:[1,1,1,1] row_mask:0xf bank_mask:0xf// 000000005BA8: 0AF2F2FA FF0055FA
	v_mul_f32_dpp v122, v250, v122 quad_perm:[2,2,2,2] row_mask:0xf bank_mask:0xf// 000000005BB0: 0AF4F4FA FF00AAFA
	v_mul_f32_dpp v123, v250, v123 quad_perm:[3,3,3,3] row_mask:0xf bank_mask:0xf// 000000005BB8: 0AF6F6FA FF00FFFA
	v_mul_f32_dpp v124, v251, v124 quad_perm:[0,0,0,0] row_mask:0xf bank_mask:0xf// 000000005BC0: 0AF8F8FA FF0000FB
	v_mul_f32_dpp v125, v251, v125 quad_perm:[1,1,1,1] row_mask:0xf bank_mask:0xf// 000000005BC8: 0AFAFAFA FF0055FB
	v_mul_f32_dpp v126, v251, v126 quad_perm:[2,2,2,2] row_mask:0xf bank_mask:0xf// 000000005BD0: 0AFCFCFA FF00AAFB
	v_mul_f32_dpp v127, v251, v127 quad_perm:[3,3,3,3] row_mask:0xf bank_mask:0xf// 000000005BD8: 0AFEFEFA FF00FFFB
	s_cmp_le_i32 s90, s89                                      // 000000005BE0: BF05595A
	s_cbranch_scc1 label_0EEB                                  // 000000005BE4: BF850071
	v_mov_b32_e32 v66, 0xff800000                              // 000000005BE8: 7E8402FF FF800000
	s_mov_b32 s60, s90                                         // 000000005BF0: BEBC005A
	s_add_u32 s61, s89, 0xff                                   // 000000005BF4: 803DFF59 000000FF
	v_mov_b32_e32 v64, s61                                     // 000000005BFC: 7E80023D
	v_lshrrev_b32_e32 v240, 4, v0                              // 000000005C00: 21E00084
	v_mul_i32_i24_e32 v240, 4, v240                            // 000000005C04: 0DE1E084
	v_add_u32_e32 v240, s60, v240                              // 000000005C08: 69E1E03C
	s_mov_b32 s61, 0                                           // 000000005C0C: BEBD0080
	s_mul_i32 s60, 16, s7                                      // 000000005C10: 923C0790
	v_sub_u32_e64 v240, v240, s61                              // 000000005C14: D13500F0 00007BF0
	v_add_u32_e32 v240, s60, v240                              // 000000005C1C: 69E1E03C
	v_add_u32_e32 v241, 1, v240                                // 000000005C20: 69E3E081
	v_add_u32_e32 v242, 2, v240                                // 000000005C24: 69E5E082
	v_add_u32_e32 v243, 3, v240                                // 000000005C28: 69E7E083
	v_cmp_le_u32_e64 s[40:41], v240, v64                       // 000000005C2C: D0CB0028 000281F0
	v_add_u32_e32 v240, 64, v240                               // 000000005C34: 69E1E0C0
	s_nop 0                                                    // 000000005C38: BF800000
	v_cndmask_b32_e64 v112, v66, v112, s[40:41]                // 000000005C3C: D1000070 00A2E142
	v_cmp_le_u32_e64 s[40:41], v241, v64                       // 000000005C44: D0CB0028 000281F1
	v_add_u32_e32 v241, 64, v241                               // 000000005C4C: 69E3E2C0
	s_nop 0                                                    // 000000005C50: BF800000
	v_cndmask_b32_e64 v113, v66, v113, s[40:41]                // 000000005C54: D1000071 00A2E342
	v_cmp_le_u32_e64 s[40:41], v242, v64                       // 000000005C5C: D0CB0028 000281F2
	v_add_u32_e32 v242, 64, v242                               // 000000005C64: 69E5E4C0
	s_nop 0                                                    // 000000005C68: BF800000
	v_cndmask_b32_e64 v114, v66, v114, s[40:41]                // 000000005C6C: D1000072 00A2E542
	v_cmp_le_u32_e64 s[40:41], v243, v64                       // 000000005C74: D0CB0028 000281F3
	v_add_u32_e32 v243, 64, v243                               // 000000005C7C: 69E7E6C0
	s_nop 0                                                    // 000000005C80: BF800000
	v_cndmask_b32_e64 v115, v66, v115, s[40:41]                // 000000005C84: D1000073 00A2E742
	v_cmp_le_u32_e64 s[40:41], v240, v64                       // 000000005C8C: D0CB0028 000281F0
	v_add_u32_e32 v240, 64, v240                               // 000000005C94: 69E1E0C0
	s_nop 0                                                    // 000000005C98: BF800000
	v_cndmask_b32_e64 v116, v66, v116, s[40:41]                // 000000005C9C: D1000074 00A2E942
	v_cmp_le_u32_e64 s[40:41], v241, v64                       // 000000005CA4: D0CB0028 000281F1
	v_add_u32_e32 v241, 64, v241                               // 000000005CAC: 69E3E2C0
	s_nop 0                                                    // 000000005CB0: BF800000
	v_cndmask_b32_e64 v117, v66, v117, s[40:41]                // 000000005CB4: D1000075 00A2EB42
	v_cmp_le_u32_e64 s[40:41], v242, v64                       // 000000005CBC: D0CB0028 000281F2
	v_add_u32_e32 v242, 64, v242                               // 000000005CC4: 69E5E4C0
	s_nop 0                                                    // 000000005CC8: BF800000
	v_cndmask_b32_e64 v118, v66, v118, s[40:41]                // 000000005CCC: D1000076 00A2ED42
	v_cmp_le_u32_e64 s[40:41], v243, v64                       // 000000005CD4: D0CB0028 000281F3
	v_add_u32_e32 v243, 64, v243                               // 000000005CDC: 69E7E6C0
	s_nop 0                                                    // 000000005CE0: BF800000
	v_cndmask_b32_e64 v119, v66, v119, s[40:41]                // 000000005CE4: D1000077 00A2EF42
	v_cmp_le_u32_e64 s[40:41], v240, v64                       // 000000005CEC: D0CB0028 000281F0
	v_add_u32_e32 v240, 64, v240                               // 000000005CF4: 69E1E0C0
	s_nop 0                                                    // 000000005CF8: BF800000
	v_cndmask_b32_e64 v120, v66, v120, s[40:41]                // 000000005CFC: D1000078 00A2F142
	v_cmp_le_u32_e64 s[40:41], v241, v64                       // 000000005D04: D0CB0028 000281F1
	v_add_u32_e32 v241, 64, v241                               // 000000005D0C: 69E3E2C0
	s_nop 0                                                    // 000000005D10: BF800000
	v_cndmask_b32_e64 v121, v66, v121, s[40:41]                // 000000005D14: D1000079 00A2F342
	v_cmp_le_u32_e64 s[40:41], v242, v64                       // 000000005D1C: D0CB0028 000281F2
	v_add_u32_e32 v242, 64, v242                               // 000000005D24: 69E5E4C0
	s_nop 0                                                    // 000000005D28: BF800000
	v_cndmask_b32_e64 v122, v66, v122, s[40:41]                // 000000005D2C: D100007A 00A2F542
	v_cmp_le_u32_e64 s[40:41], v243, v64                       // 000000005D34: D0CB0028 000281F3
	v_add_u32_e32 v243, 64, v243                               // 000000005D3C: 69E7E6C0
	s_nop 0                                                    // 000000005D40: BF800000
	v_cndmask_b32_e64 v123, v66, v123, s[40:41]                // 000000005D44: D100007B 00A2F742
	v_cmp_le_u32_e64 s[40:41], v240, v64                       // 000000005D4C: D0CB0028 000281F0
	v_add_u32_e32 v240, 64, v240                               // 000000005D54: 69E1E0C0
	s_nop 0                                                    // 000000005D58: BF800000
	v_cndmask_b32_e64 v124, v66, v124, s[40:41]                // 000000005D5C: D100007C 00A2F942
	v_cmp_le_u32_e64 s[40:41], v241, v64                       // 000000005D64: D0CB0028 000281F1
	v_add_u32_e32 v241, 64, v241                               // 000000005D6C: 69E3E2C0
	s_nop 0                                                    // 000000005D70: BF800000
	v_cndmask_b32_e64 v125, v66, v125, s[40:41]                // 000000005D74: D100007D 00A2FB42
	v_cmp_le_u32_e64 s[40:41], v242, v64                       // 000000005D7C: D0CB0028 000281F2
	v_add_u32_e32 v242, 64, v242                               // 000000005D84: 69E5E4C0
	s_nop 0                                                    // 000000005D88: BF800000
	v_cndmask_b32_e64 v126, v66, v126, s[40:41]                // 000000005D8C: D100007E 00A2FD42
	v_cmp_le_u32_e64 s[40:41], v243, v64                       // 000000005D94: D0CB0028 000281F3
	v_add_u32_e32 v243, 64, v243                               // 000000005D9C: 69E7E6C0
	s_nop 0                                                    // 000000005DA0: BF800000
	v_cndmask_b32_e64 v127, v66, v127, s[40:41]                // 000000005DA4: D100007F 00A2FF42

0000000000005dac <label_0EEB>:
	s_add_u32 s90, s91, s90                                    // 000000005DAC: 805A5A5B
	s_and_b32 s60, s72, 0xff                                   // 000000005DB0: 863CFF48 000000FF
	v_mov_b32_e32 v65, s60                                     // 000000005DB8: 7E82023C
	v_lshrrev_b32_e32 v240, 4, v0                              // 000000005DBC: 21E00084
	v_mul_i32_i24_e32 v240, 4, v240                            // 000000005DC0: 0DE1E084
	s_mul_i32 s60, s7, 16                                      // 000000005DC4: 923C9007
	v_add_u32_e32 v240, s60, v240                              // 000000005DC8: 69E1E03C
	v_add_u32_e32 v241, 1, v240                                // 000000005DCC: 69E3E081
	v_add_u32_e32 v242, 2, v240                                // 000000005DD0: 69E5E082
	v_add_u32_e32 v243, 3, v240                                // 000000005DD4: 69E7E083
	v_mov_b32_e32 v64, 0xff800000                              // 000000005DD8: 7E8002FF FF800000
	v_cmp_lt_u32_e64 s[40:41], v240, v65                       // 000000005DE0: D0C90028 000283F0
	v_add_u32_e32 v240, 64, v240                               // 000000005DE8: 69E1E0C0
	s_nop 0                                                    // 000000005DEC: BF800000
	v_cndmask_b32_e64 v112, v64, v112, s[40:41]                // 000000005DF0: D1000070 00A2E140
	v_cmp_lt_u32_e64 s[40:41], v241, v65                       // 000000005DF8: D0C90028 000283F1
	v_add_u32_e32 v241, 64, v241                               // 000000005E00: 69E3E2C0
	s_nop 0                                                    // 000000005E04: BF800000
	v_cndmask_b32_e64 v113, v64, v113, s[40:41]                // 000000005E08: D1000071 00A2E340
	v_cmp_lt_u32_e64 s[40:41], v242, v65                       // 000000005E10: D0C90028 000283F2
	v_add_u32_e32 v242, 64, v242                               // 000000005E18: 69E5E4C0
	s_nop 0                                                    // 000000005E1C: BF800000
	v_cndmask_b32_e64 v114, v64, v114, s[40:41]                // 000000005E20: D1000072 00A2E540
	v_cmp_lt_u32_e64 s[40:41], v243, v65                       // 000000005E28: D0C90028 000283F3
	v_add_u32_e32 v243, 64, v243                               // 000000005E30: 69E7E6C0
	s_nop 0                                                    // 000000005E34: BF800000
	v_cndmask_b32_e64 v115, v64, v115, s[40:41]                // 000000005E38: D1000073 00A2E740
	v_cmp_lt_u32_e64 s[40:41], v240, v65                       // 000000005E40: D0C90028 000283F0
	v_add_u32_e32 v240, 64, v240                               // 000000005E48: 69E1E0C0
	s_nop 0                                                    // 000000005E4C: BF800000
	v_cndmask_b32_e64 v116, v64, v116, s[40:41]                // 000000005E50: D1000074 00A2E940
	v_cmp_lt_u32_e64 s[40:41], v241, v65                       // 000000005E58: D0C90028 000283F1
	v_add_u32_e32 v241, 64, v241                               // 000000005E60: 69E3E2C0
	s_nop 0                                                    // 000000005E64: BF800000
	v_cndmask_b32_e64 v117, v64, v117, s[40:41]                // 000000005E68: D1000075 00A2EB40
	v_cmp_lt_u32_e64 s[40:41], v242, v65                       // 000000005E70: D0C90028 000283F2
	v_add_u32_e32 v242, 64, v242                               // 000000005E78: 69E5E4C0
	s_nop 0                                                    // 000000005E7C: BF800000
	v_cndmask_b32_e64 v118, v64, v118, s[40:41]                // 000000005E80: D1000076 00A2ED40
	v_cmp_lt_u32_e64 s[40:41], v243, v65                       // 000000005E88: D0C90028 000283F3
	v_add_u32_e32 v243, 64, v243                               // 000000005E90: 69E7E6C0
	s_nop 0                                                    // 000000005E94: BF800000
	v_cndmask_b32_e64 v119, v64, v119, s[40:41]                // 000000005E98: D1000077 00A2EF40
	v_cmp_lt_u32_e64 s[40:41], v240, v65                       // 000000005EA0: D0C90028 000283F0
	v_add_u32_e32 v240, 64, v240                               // 000000005EA8: 69E1E0C0
	s_nop 0                                                    // 000000005EAC: BF800000
	v_cndmask_b32_e64 v120, v64, v120, s[40:41]                // 000000005EB0: D1000078 00A2F140
	v_cmp_lt_u32_e64 s[40:41], v241, v65                       // 000000005EB8: D0C90028 000283F1
	v_add_u32_e32 v241, 64, v241                               // 000000005EC0: 69E3E2C0
	s_nop 0                                                    // 000000005EC4: BF800000
	v_cndmask_b32_e64 v121, v64, v121, s[40:41]                // 000000005EC8: D1000079 00A2F340
	v_cmp_lt_u32_e64 s[40:41], v242, v65                       // 000000005ED0: D0C90028 000283F2
	v_add_u32_e32 v242, 64, v242                               // 000000005ED8: 69E5E4C0
	s_nop 0                                                    // 000000005EDC: BF800000
	v_cndmask_b32_e64 v122, v64, v122, s[40:41]                // 000000005EE0: D100007A 00A2F540
	v_cmp_lt_u32_e64 s[40:41], v243, v65                       // 000000005EE8: D0C90028 000283F3
	v_add_u32_e32 v243, 64, v243                               // 000000005EF0: 69E7E6C0
	s_nop 0                                                    // 000000005EF4: BF800000
	v_cndmask_b32_e64 v123, v64, v123, s[40:41]                // 000000005EF8: D100007B 00A2F740
	v_cmp_lt_u32_e64 s[40:41], v240, v65                       // 000000005F00: D0C90028 000283F0
	v_add_u32_e32 v240, 64, v240                               // 000000005F08: 69E1E0C0
	s_nop 0                                                    // 000000005F0C: BF800000
	v_cndmask_b32_e64 v124, v64, v124, s[40:41]                // 000000005F10: D100007C 00A2F940
	v_cmp_lt_u32_e64 s[40:41], v241, v65                       // 000000005F18: D0C90028 000283F1
	v_add_u32_e32 v241, 64, v241                               // 000000005F20: 69E3E2C0
	s_nop 0                                                    // 000000005F24: BF800000
	v_cndmask_b32_e64 v125, v64, v125, s[40:41]                // 000000005F28: D100007D 00A2FB40
	v_cmp_lt_u32_e64 s[40:41], v242, v65                       // 000000005F30: D0C90028 000283F2
	v_add_u32_e32 v242, 64, v242                               // 000000005F38: 69E5E4C0
	s_nop 0                                                    // 000000005F3C: BF800000
	v_cndmask_b32_e64 v126, v64, v126, s[40:41]                // 000000005F40: D100007E 00A2FD40
	v_cmp_lt_u32_e64 s[40:41], v243, v65                       // 000000005F48: D0C90028 000283F3
	v_add_u32_e32 v243, 64, v243                               // 000000005F50: 69E7E6C0
	s_nop 0                                                    // 000000005F54: BF800000
	v_cndmask_b32_e64 v127, v64, v127, s[40:41]                // 000000005F58: D100007F 00A2FF40
	v_mov_b32_e32 v48, v112                                    // 000000005F60: 7E600370
	v_max3_f32 v48, v112, v113, v48                            // 000000005F64: D1D30030 04C2E370
	v_max3_f32 v48, v114, v115, v48                            // 000000005F6C: D1D30030 04C2E772
	v_max3_f32 v48, v116, v117, v48                            // 000000005F74: D1D30030 04C2EB74
	v_max3_f32 v48, v118, v119, v48                            // 000000005F7C: D1D30030 04C2EF76
	v_max3_f32 v48, v120, v121, v48                            // 000000005F84: D1D30030 04C2F378
	v_max3_f32 v48, v122, v123, v48                            // 000000005F8C: D1D30030 04C2F77A
	v_max3_f32 v48, v124, v125, v48                            // 000000005F94: D1D30030 04C2FB7C
	v_max3_f32 v48, v126, v127, v48                            // 000000005F9C: D1D30030 04C2FF7E
	ds_write_b32 v8, v48 offset:16896                          // 000000005FA4: D81A4200 00003008
	v_mul_u32_u24_dpp v64, v17, v54 row_newbcast:1 row_mask:0xf bank_mask:0xf// 000000005FAC: 10806CFA FF015111
	v_mul_u32_u24_dpp v65, v17, v54 row_newbcast:5 row_mask:0xf bank_mask:0xf// 000000005FB4: 10826CFA FF015511
	v_mul_u32_u24_dpp v66, v17, v54 row_newbcast:9 row_mask:0xf bank_mask:0xf// 000000005FBC: 10846CFA FF015911
	v_mul_u32_u24_dpp v67, v17, v54 row_newbcast:13 row_mask:0xf bank_mask:0xf// 000000005FC4: 10866CFA FF015D11
	v_add_u32_e32 v34, v64, v6                                 // 000000005FCC: 68440D40
	v_add_u32_e32 v35, v65, v6                                 // 000000005FD0: 68460D41
	v_add_u32_e32 v36, v66, v6                                 // 000000005FD4: 68480D42
	v_add_u32_e32 v37, v67, v6                                 // 000000005FD8: 684A0D43
	v_mul_f32_e32 v208, v49, v208                              // 000000005FDC: 0BA1A131
	v_mul_f32_e32 v209, v49, v209                              // 000000005FE0: 0BA3A331
	v_mul_f32_e32 v210, v49, v210                              // 000000005FE4: 0BA5A531
	v_mul_f32_e32 v211, v49, v211                              // 000000005FE8: 0BA7A731
	v_mul_f32_e32 v212, v49, v212                              // 000000005FEC: 0BA9A931
	v_mul_f32_e32 v213, v49, v213                              // 000000005FF0: 0BABAB31
	v_mul_f32_e32 v214, v49, v214                              // 000000005FF4: 0BADAD31
	v_mul_f32_e32 v215, v49, v215                              // 000000005FF8: 0BAFAF31
	s_waitcnt lgkmcnt(0)                                       // 000000005FFC: BF8CC07F
	s_barrier                                                  // 000000006000: BF8A0000
	ds_read_b32 v64, v7 offset:16896                           // 000000006004: D86C4200 40000007
	ds_read_b32 v65, v7 offset:16960                           // 00000000600C: D86C4240 41000007
	ds_read_b32 v66, v7 offset:17024                           // 000000006014: D86C4280 42000007
	ds_read_b32 v67, v7 offset:17088                           // 00000000601C: D86C42C0 43000007
	ds_read_b32 v68, v7 offset:17152                           // 000000006024: D86C4300 44000007
	ds_read_b32 v69, v7 offset:17216                           // 00000000602C: D86C4340 45000007
	ds_read_b32 v70, v7 offset:17280                           // 000000006034: D86C4380 46000007
	ds_read_b32 v71, v7 offset:17344                           // 00000000603C: D86C43C0 47000007
	ds_read_b32 v72, v7 offset:17408                           // 000000006044: D86C4400 48000007
	ds_read_b32 v73, v7 offset:17472                           // 00000000604C: D86C4440 49000007
	ds_read_b32 v74, v7 offset:17536                           // 000000006054: D86C4480 4A000007
	ds_read_b32 v75, v7 offset:17600                           // 00000000605C: D86C44C0 4B000007
	ds_read_b32 v76, v7 offset:17664                           // 000000006064: D86C4500 4C000007
	ds_read_b32 v77, v7 offset:17728                           // 00000000606C: D86C4540 4D000007
	ds_read_b32 v78, v7 offset:17792                           // 000000006074: D86C4580 4E000007
	ds_read_b32 v79, v7 offset:17856                           // 00000000607C: D86C45C0 4F000007
	v_cvt_f32_i32_e32 v176, v176                               // 000000006084: 7F600BB0
	v_cvt_f32_i32_e32 v177, v177                               // 000000006088: 7F620BB1
	v_cvt_f32_i32_e32 v178, v178                               // 00000000608C: 7F640BB2
	v_cvt_f32_i32_e32 v179, v179                               // 000000006090: 7F660BB3
	v_cvt_f32_i32_e32 v180, v180                               // 000000006094: 7F680BB4
	v_cvt_f32_i32_e32 v181, v181                               // 000000006098: 7F6A0BB5
	v_cvt_f32_i32_e32 v182, v182                               // 00000000609C: 7F6C0BB6
	v_cvt_f32_i32_e32 v183, v183                               // 0000000060A0: 7F6E0BB7
	v_mul_f32_e32 v176, v44, v176                              // 0000000060A4: 0B61612C
	v_mul_f32_e32 v177, v44, v177                              // 0000000060A8: 0B63632C
	v_mul_f32_e32 v178, v44, v178                              // 0000000060AC: 0B65652C
	v_mul_f32_e32 v179, v44, v179                              // 0000000060B0: 0B67672C
	v_mul_f32_e32 v180, v44, v180                              // 0000000060B4: 0B69692C
	v_mul_f32_e32 v181, v44, v181                              // 0000000060B8: 0B6B6B2C
	v_mul_f32_e32 v182, v44, v182                              // 0000000060BC: 0B6D6D2C
	v_mul_f32_e32 v183, v44, v183                              // 0000000060C0: 0B6F6F2C
	s_waitcnt lgkmcnt(0)                                       // 0000000060C4: BF8CC07F
	v_max3_f32 v48, v64, v65, v48                              // 0000000060C8: D1D30030 04C28340
	v_max3_f32 v48, v66, v67, v48                              // 0000000060D0: D1D30030 04C28742
	v_max3_f32 v48, v68, v69, v48                              // 0000000060D8: D1D30030 04C28B44
	v_max3_f32 v48, v70, v71, v48                              // 0000000060E0: D1D30030 04C28F46
	v_max3_f32 v48, v72, v73, v48                              // 0000000060E8: D1D30030 04C29348
	v_max3_f32 v48, v74, v75, v48                              // 0000000060F0: D1D30030 04C2974A
	v_max3_f32 v48, v76, v77, v48                              // 0000000060F8: D1D30030 04C29B4C
	v_max3_f32 v48, v78, v79, v48                              // 000000006100: D1D30030 04C29F4E
	v_mov_b32_e32 v64, 0xff800000                              // 000000006108: 7E8002FF FF800000
	v_cmp_eq_u32_e64 s[40:41], v64, v11                        // 000000006110: D0CA0028 00021740
	s_nop 1                                                    // 000000006118: BF800001
	v_max_f32_e32 v15, v48, v11                                // 00000000611C: 161E1730
	v_mul_f32_e32 v53, s64, v15                                // 000000006120: 0A6A1E40
	v_fma_f32 v112, v112, s64, -v53                            // 000000006124: D1CB0070 84D48170
	v_fma_f32 v113, v113, s64, -v53                            // 00000000612C: D1CB0071 84D48171
	v_fma_f32 v114, v114, s64, -v53                            // 000000006134: D1CB0072 84D48172
	v_fma_f32 v115, v115, s64, -v53                            // 00000000613C: D1CB0073 84D48173
	v_fma_f32 v116, v116, s64, -v53                            // 000000006144: D1CB0074 84D48174
	v_fma_f32 v117, v117, s64, -v53                            // 00000000614C: D1CB0075 84D48175
	v_fma_f32 v118, v118, s64, -v53                            // 000000006154: D1CB0076 84D48176
	v_fma_f32 v119, v119, s64, -v53                            // 00000000615C: D1CB0077 84D48177
	v_fma_f32 v120, v120, s64, -v53                            // 000000006164: D1CB0078 84D48178
	v_fma_f32 v121, v121, s64, -v53                            // 00000000616C: D1CB0079 84D48179
	v_fma_f32 v122, v122, s64, -v53                            // 000000006174: D1CB007A 84D4817A
	v_fma_f32 v123, v123, s64, -v53                            // 00000000617C: D1CB007B 84D4817B
	v_fma_f32 v124, v124, s64, -v53                            // 000000006184: D1CB007C 84D4817C
	v_fma_f32 v125, v125, s64, -v53                            // 00000000618C: D1CB007D 84D4817D
	v_fma_f32 v126, v126, s64, -v53                            // 000000006194: D1CB007E 84D4817E
	v_fma_f32 v127, v127, s64, -v53                            // 00000000619C: D1CB007F 84D4817F
	v_exp_f32_e32 v112, v112                                   // 0000000061A4: 7EE04170
	v_exp_f32_e32 v113, v113                                   // 0000000061A8: 7EE24171
	v_exp_f32_e32 v114, v114                                   // 0000000061AC: 7EE44172
	v_exp_f32_e32 v115, v115                                   // 0000000061B0: 7EE64173
	v_exp_f32_e32 v116, v116                                   // 0000000061B4: 7EE84174
	v_exp_f32_e32 v117, v117                                   // 0000000061B8: 7EEA4175
	v_exp_f32_e32 v118, v118                                   // 0000000061BC: 7EEC4176
	v_exp_f32_e32 v119, v119                                   // 0000000061C0: 7EEE4177
	v_exp_f32_e32 v120, v120                                   // 0000000061C4: 7EF04178
	v_exp_f32_e32 v121, v121                                   // 0000000061C8: 7EF24179
	v_exp_f32_e32 v122, v122                                   // 0000000061CC: 7EF4417A
	v_exp_f32_e32 v123, v123                                   // 0000000061D0: 7EF6417B
	v_exp_f32_e32 v124, v124                                   // 0000000061D4: 7EF8417C
	v_exp_f32_e32 v125, v125                                   // 0000000061D8: 7EFA417D
	v_exp_f32_e32 v126, v126                                   // 0000000061DC: 7EFC417E
	v_exp_f32_e32 v127, v127                                   // 0000000061E0: 7EFE417F
	v_mul_f32_dpp v240, v252, v112 quad_perm:[0,0,0,0] row_mask:0xf bank_mask:0xf// 0000000061E4: 0BE0E0FA FF0000FC
	v_mul_f32_dpp v241, v252, v113 quad_perm:[1,1,1,1] row_mask:0xf bank_mask:0xf// 0000000061EC: 0BE2E2FA FF0055FC
	v_mul_f32_dpp v242, v252, v114 quad_perm:[2,2,2,2] row_mask:0xf bank_mask:0xf// 0000000061F4: 0BE4E4FA FF00AAFC
	v_mul_f32_dpp v243, v252, v115 quad_perm:[3,3,3,3] row_mask:0xf bank_mask:0xf// 0000000061FC: 0BE6E6FA FF00FFFC
	v_mul_f32_dpp v244, v253, v116 quad_perm:[0,0,0,0] row_mask:0xf bank_mask:0xf// 000000006204: 0BE8E8FA FF0000FD
	v_mul_f32_dpp v245, v253, v117 quad_perm:[1,1,1,1] row_mask:0xf bank_mask:0xf// 00000000620C: 0BEAEAFA FF0055FD
	v_mul_f32_dpp v246, v253, v118 quad_perm:[2,2,2,2] row_mask:0xf bank_mask:0xf// 000000006214: 0BECECFA FF00AAFD
	v_mul_f32_dpp v247, v253, v119 quad_perm:[3,3,3,3] row_mask:0xf bank_mask:0xf// 00000000621C: 0BEEEEFA FF00FFFD
	v_mul_f32_dpp v248, v254, v120 quad_perm:[0,0,0,0] row_mask:0xf bank_mask:0xf// 000000006224: 0BF0F0FA FF0000FE
	v_mul_f32_dpp v249, v254, v121 quad_perm:[1,1,1,1] row_mask:0xf bank_mask:0xf// 00000000622C: 0BF2F2FA FF0055FE
	v_mul_f32_dpp v250, v254, v122 quad_perm:[2,2,2,2] row_mask:0xf bank_mask:0xf// 000000006234: 0BF4F4FA FF00AAFE
	v_mul_f32_dpp v251, v254, v123 quad_perm:[3,3,3,3] row_mask:0xf bank_mask:0xf// 00000000623C: 0BF6F6FA FF00FFFE
	v_mul_f32_dpp v252, v255, v124 quad_perm:[0,0,0,0] row_mask:0xf bank_mask:0xf// 000000006244: 0BF8F8FA FF0000FF
	v_mul_f32_dpp v253, v255, v125 quad_perm:[1,1,1,1] row_mask:0xf bank_mask:0xf// 00000000624C: 0BFAFAFA FF0055FF
	v_mul_f32_dpp v254, v255, v126 quad_perm:[2,2,2,2] row_mask:0xf bank_mask:0xf// 000000006254: 0BFCFCFA FF00AAFF
	v_mul_f32_dpp v255, v255, v127 quad_perm:[3,3,3,3] row_mask:0xf bank_mask:0xf// 00000000625C: 0BFEFEFA FF00FFFF
	v_mov_b32_e32 v48, 0x358637bd                              // 000000006264: 7E6002FF 358637BD
	v_max3_f32 v48, |v240|, |v241|, v48                        // 00000000626C: D1D30330 04C3E3F0
	v_max3_f32 v48, |v242|, |v243|, v48                        // 000000006274: D1D30330 04C3E7F2
	v_max3_f32 v48, |v244|, |v245|, v48                        // 00000000627C: D1D30330 04C3EBF4
	v_max3_f32 v48, |v246|, |v247|, v48                        // 000000006284: D1D30330 04C3EFF6
	v_max3_f32 v48, |v248|, |v249|, v48                        // 00000000628C: D1D30330 04C3F3F8
	v_max3_f32 v48, |v250|, |v251|, v48                        // 000000006294: D1D30330 04C3F7FA
	v_max3_f32 v48, |v252|, |v253|, v48                        // 00000000629C: D1D30330 04C3FBFC
	v_max3_f32 v48, |v254|, |v255|, v48                        // 0000000062A4: D1D30330 04C3FFFE
	ds_write_b32 v8, v48 offset:20992                          // 0000000062AC: D81A5200 00003008
	v_sub_f32_e32 v49, v11, v15                                // 0000000062B4: 04621F0B
	v_cndmask_b32_e64 v49, v49, 0, s[40:41]                    // 0000000062B8: D1000031 00A10131
	v_mov_b32_e32 v11, v15                                     // 0000000062C0: 7E16030F
	v_mul_f32_e32 v49, s64, v49                                // 0000000062C4: 0A626240
	v_exp_f32_e32 v49, v49                                     // 0000000062C8: 7E624131
	s_waitcnt lgkmcnt(0)                                       // 0000000062CC: BF8CC07F
	s_barrier                                                  // 0000000062D0: BF8A0000
	ds_read_b32 v64, v7 offset:20992                           // 0000000062D4: D86C5200 40000007
	ds_read_b32 v65, v7 offset:21056                           // 0000000062DC: D86C5240 41000007
	ds_read_b32 v66, v7 offset:21120                           // 0000000062E4: D86C5280 42000007
	ds_read_b32 v67, v7 offset:21184                           // 0000000062EC: D86C52C0 43000007
	ds_read_b32 v68, v7 offset:21248                           // 0000000062F4: D86C5300 44000007
	ds_read_b32 v69, v7 offset:21312                           // 0000000062FC: D86C5340 45000007
	ds_read_b32 v70, v7 offset:21376                           // 000000006304: D86C5380 46000007
	ds_read_b32 v71, v7 offset:21440                           // 00000000630C: D86C53C0 47000007
	ds_read_b32 v72, v7 offset:21504                           // 000000006314: D86C5400 48000007
	ds_read_b32 v73, v7 offset:21568                           // 00000000631C: D86C5440 49000007
	ds_read_b32 v74, v7 offset:21632                           // 000000006324: D86C5480 4A000007
	ds_read_b32 v75, v7 offset:21696                           // 00000000632C: D86C54C0 4B000007
	ds_read_b32 v76, v7 offset:21760                           // 000000006334: D86C5500 4C000007
	ds_read_b32 v77, v7 offset:21824                           // 00000000633C: D86C5540 4D000007
	ds_read_b32 v78, v7 offset:21888                           // 000000006344: D86C5580 4E000007
	ds_read_b32 v79, v7 offset:21952                           // 00000000634C: D86C55C0 4F000007
	v_mul_f32_e32 v38, v49, v38                                // 000000006354: 0A4C4D31
	v_mov_b32_e32 v15, v112                                    // 000000006358: 7E1E0370
	v_add_f32_e32 v15, v113, v15                               // 00000000635C: 021E1F71
	v_add_f32_e32 v15, v114, v15                               // 000000006360: 021E1F72
	v_add_f32_e32 v15, v115, v15                               // 000000006364: 021E1F73
	v_add_f32_e32 v15, v116, v15                               // 000000006368: 021E1F74
	v_add_f32_e32 v15, v117, v15                               // 00000000636C: 021E1F75
	v_add_f32_e32 v15, v118, v15                               // 000000006370: 021E1F76
	v_add_f32_e32 v15, v119, v15                               // 000000006374: 021E1F77
	v_add_f32_e32 v15, v120, v15                               // 000000006378: 021E1F78
	v_add_f32_e32 v15, v121, v15                               // 00000000637C: 021E1F79
	v_add_f32_e32 v15, v122, v15                               // 000000006380: 021E1F7A
	v_add_f32_e32 v15, v123, v15                               // 000000006384: 021E1F7B
	v_add_f32_e32 v15, v124, v15                               // 000000006388: 021E1F7C
	v_add_f32_e32 v15, v125, v15                               // 00000000638C: 021E1F7D
	v_add_f32_e32 v15, v126, v15                               // 000000006390: 021E1F7E
	v_add_f32_e32 v15, v127, v15                               // 000000006394: 021E1F7F
	v_add_f32_e32 v38, v15, v38                                // 000000006398: 024C4D0F
	s_waitcnt lgkmcnt(0)                                       // 00000000639C: BF8CC07F
	v_max3_f32 v48, |v64|, |v65|, v48                          // 0000000063A0: D1D30330 04C28340
	v_max3_f32 v48, |v66|, |v67|, v48                          // 0000000063A8: D1D30330 04C28742
	v_max3_f32 v48, |v68|, |v69|, v48                          // 0000000063B0: D1D30330 04C28B44
	v_max3_f32 v48, |v70|, |v71|, v48                          // 0000000063B8: D1D30330 04C28F46
	v_max3_f32 v48, |v72|, |v73|, v48                          // 0000000063C0: D1D30330 04C29348
	v_max3_f32 v48, |v74|, |v75|, v48                          // 0000000063C8: D1D30330 04C2974A
	v_max3_f32 v48, |v76|, |v77|, v48                          // 0000000063D0: D1D30330 04C29B4C
	v_max3_f32 v48, |v78|, |v79|, v48                          // 0000000063D8: D1D30330 04C29F4E
	s_nop 2                                                    // 0000000063E0: BF800002
	v_rcp_f32_e32 v48, v48                                     // 0000000063E4: 7E604530
	s_nop 1                                                    // 0000000063E8: BF800001
	v_mul_f32_e32 v48, 0x42fe0000, v48                         // 0000000063EC: 0A6060FF 42FE0000
	v_mul_f32_e32 v112, v48, v240                              // 0000000063F4: 0AE1E130
	v_mul_f32_e32 v113, v48, v241                              // 0000000063F8: 0AE3E330
	v_mul_f32_e32 v114, v48, v242                              // 0000000063FC: 0AE5E530
	v_mul_f32_e32 v115, v48, v243                              // 000000006400: 0AE7E730
	v_mul_f32_e32 v116, v48, v244                              // 000000006404: 0AE9E930
	v_mul_f32_e32 v117, v48, v245                              // 000000006408: 0AEBEB30
	v_mul_f32_e32 v118, v48, v246                              // 00000000640C: 0AEDED30
	v_mul_f32_e32 v119, v48, v247                              // 000000006410: 0AEFEF30
	v_mul_f32_e32 v120, v48, v248                              // 000000006414: 0AF1F130
	v_mul_f32_e32 v121, v48, v249                              // 000000006418: 0AF3F330
	v_mul_f32_e32 v122, v48, v250                              // 00000000641C: 0AF5F530
	v_mul_f32_e32 v123, v48, v251                              // 000000006420: 0AF7F730
	v_mul_f32_e32 v124, v48, v252                              // 000000006424: 0AF9F930
	v_mul_f32_e32 v125, v48, v253                              // 000000006428: 0AFBFB30
	v_mul_f32_e32 v126, v48, v254                              // 00000000642C: 0AFDFD30
	v_mul_f32_e32 v127, v48, v255                              // 000000006430: 0AFFFF30
	v_cvt_i32_f32_e32 v112, v112                               // 000000006434: 7EE01170
	v_cvt_i32_f32_e32 v113, v113                               // 000000006438: 7EE21171
	v_cvt_i32_f32_e32 v114, v114                               // 00000000643C: 7EE41172
	v_cvt_i32_f32_e32 v115, v115                               // 000000006440: 7EE61173
	v_cvt_i32_f32_e32 v116, v116                               // 000000006444: 7EE81174
	v_cvt_i32_f32_e32 v117, v117                               // 000000006448: 7EEA1175
	v_cvt_i32_f32_e32 v118, v118                               // 00000000644C: 7EEC1176
	v_cvt_i32_f32_e32 v119, v119                               // 000000006450: 7EEE1177
	v_cvt_i32_f32_e32 v120, v120                               // 000000006454: 7EF01178
	v_cvt_i32_f32_e32 v121, v121                               // 000000006458: 7EF21179
	v_cvt_i32_f32_e32 v122, v122                               // 00000000645C: 7EF4117A
	v_cvt_i32_f32_e32 v123, v123                               // 000000006460: 7EF6117B
	v_cvt_i32_f32_e32 v124, v124                               // 000000006464: 7EF8117C
	v_cvt_i32_f32_e32 v125, v125                               // 000000006468: 7EFA117D
	v_cvt_i32_f32_e32 v126, v126                               // 00000000646C: 7EFC117E
	v_cvt_i32_f32_e32 v127, v127                               // 000000006470: 7EFE117F
	v_perm_b32 v112, v113, v112, s53                           // 000000006474: D1ED0070 00D6E171
	v_perm_b32 v112, v114, v112, s54                           // 00000000647C: D1ED0070 00DAE172
	v_perm_b32 v112, v115, v112, s55                           // 000000006484: D1ED0070 00DEE173
	v_perm_b32 v113, v117, v116, s53                           // 00000000648C: D1ED0071 00D6E975
	v_perm_b32 v113, v118, v113, s54                           // 000000006494: D1ED0071 00DAE376
	v_perm_b32 v113, v119, v113, s55                           // 00000000649C: D1ED0071 00DEE377
	v_perm_b32 v114, v121, v120, s53                           // 0000000064A4: D1ED0072 00D6F179
	v_perm_b32 v114, v122, v114, s54                           // 0000000064AC: D1ED0072 00DAE57A
	v_perm_b32 v114, v123, v114, s55                           // 0000000064B4: D1ED0072 00DEE57B
	v_perm_b32 v115, v125, v124, s53                           // 0000000064BC: D1ED0073 00D6F97D
	v_perm_b32 v115, v126, v115, s54                           // 0000000064C4: D1ED0073 00DAE77E
	v_perm_b32 v115, v127, v115, s55                           // 0000000064CC: D1ED0073 00DEE77F
	ds_write_b32 v10, v112 offset:25088                        // 0000000064D4: D81A6200 0000700A
	ds_write_b32 v10, v113 offset:26112                        // 0000000064DC: D81A6600 0000710A
	ds_write_b32 v10, v114 offset:27136                        // 0000000064E4: D81A6A00 0000720A
	ds_write_b32 v10, v115 offset:28160                        // 0000000064EC: D81A6E00 0000730A
	v_add_f32_e32 v208, v208, v176                             // 0000000064F4: 03A161D0
	v_add_f32_e32 v209, v209, v177                             // 0000000064F8: 03A363D1
	v_add_f32_e32 v210, v210, v178                             // 0000000064FC: 03A565D2
	v_add_f32_e32 v211, v211, v179                             // 000000006500: 03A767D3
	v_add_f32_e32 v212, v212, v180                             // 000000006504: 03A969D4
	v_add_f32_e32 v213, v213, v181                             // 000000006508: 03AB6BD5
	v_add_f32_e32 v214, v214, v182                             // 00000000650C: 03AD6DD6
	v_add_f32_e32 v215, v215, v183                             // 000000006510: 03AF6FD7
	v_rcp_f32_e32 v44, v48                                     // 000000006514: 7E584530
	s_waitcnt lgkmcnt(0)                                       // 000000006518: BF8CC07F
	s_barrier                                                  // 00000000651C: BF8A0000
	ds_read_b64 v[112:113], v9 offset:25088                    // 000000006520: D8EC6200 70000009
	ds_read_b64 v[114:115], v9 offset:25216                    // 000000006528: D8EC6280 72000009
	ds_read_b64 v[116:117], v9 offset:26112                    // 000000006530: D8EC6600 74000009
	ds_read_b64 v[118:119], v9 offset:26240                    // 000000006538: D8EC6680 76000009
	ds_read_b64 v[120:121], v9 offset:27136                    // 000000006540: D8EC6A00 78000009
	ds_read_b64 v[122:123], v9 offset:27264                    // 000000006548: D8EC6A80 7A000009
	ds_read_b64 v[124:125], v9 offset:28160                    // 000000006550: D8EC6E00 7C000009
	ds_read_b64 v[126:127], v9 offset:28288                    // 000000006558: D8EC6E80 7E000009
	s_waitcnt vmcnt(0)                                         // 000000006560: BF8C0F70
	s_barrier                                                  // 000000006564: BF8A0000
	s_waitcnt lgkmcnt(7)                                       // 000000006568: BF8CC77F
	v_mfma_i32_16x16x32_i8 v[176:179], a[64:65], v[112:113], 0 // 00000000656C: D3D700B0 0A02E140
	s_waitcnt lgkmcnt(6)                                       // 000000006574: BF8CC67F
	v_mfma_i32_16x16x32_i8 v[176:179], a[66:67], v[114:115], v[176:179]// 000000006578: D3D700B0 0EC2E542
	s_waitcnt lgkmcnt(5)                                       // 000000006580: BF8CC57F
	v_mfma_i32_16x16x32_i8 v[176:179], a[68:69], v[116:117], v[176:179]// 000000006584: D3D700B0 0EC2E944
	s_waitcnt lgkmcnt(4)                                       // 00000000658C: BF8CC47F
	v_mfma_i32_16x16x32_i8 v[176:179], a[70:71], v[118:119], v[176:179]// 000000006590: D3D700B0 0EC2ED46
	s_waitcnt lgkmcnt(3)                                       // 000000006598: BF8CC37F
	v_mfma_i32_16x16x32_i8 v[176:179], a[72:73], v[120:121], v[176:179]// 00000000659C: D3D700B0 0EC2F148
	s_waitcnt lgkmcnt(2)                                       // 0000000065A4: BF8CC27F
	v_mfma_i32_16x16x32_i8 v[176:179], a[74:75], v[122:123], v[176:179]// 0000000065A8: D3D700B0 0EC2F54A
	s_waitcnt lgkmcnt(1)                                       // 0000000065B0: BF8CC17F
	v_mfma_i32_16x16x32_i8 v[176:179], a[76:77], v[124:125], v[176:179]// 0000000065B4: D3D700B0 0EC2F94C
	s_waitcnt lgkmcnt(0)                                       // 0000000065BC: BF8CC07F
	v_mfma_i32_16x16x32_i8 v[176:179], a[78:79], v[126:127], v[176:179]// 0000000065C0: D3D700B0 0EC2FD4E
	v_mfma_i32_16x16x32_i8 v[180:183], a[80:81], v[112:113], 0 // 0000000065C8: D3D700B4 0A02E150
	v_mfma_i32_16x16x32_i8 v[180:183], a[82:83], v[114:115], v[180:183]// 0000000065D0: D3D700B4 0ED2E552
	v_mfma_i32_16x16x32_i8 v[180:183], a[84:85], v[116:117], v[180:183]// 0000000065D8: D3D700B4 0ED2E954
	v_mfma_i32_16x16x32_i8 v[180:183], a[86:87], v[118:119], v[180:183]// 0000000065E0: D3D700B4 0ED2ED56
	v_mfma_i32_16x16x32_i8 v[180:183], a[88:89], v[120:121], v[180:183]// 0000000065E8: D3D700B4 0ED2F158
	v_mfma_i32_16x16x32_i8 v[180:183], a[90:91], v[122:123], v[180:183]// 0000000065F0: D3D700B4 0ED2F55A
	v_mfma_i32_16x16x32_i8 v[180:183], a[92:93], v[124:125], v[180:183]// 0000000065F8: D3D700B4 0ED2F95C
	v_mfma_i32_16x16x32_i8 v[180:183], a[94:95], v[126:127], v[180:183]// 000000006600: D3D700B4 0ED2FD5E
	s_nop 4                                                    // 000000006608: BF800004
	s_branch label_1426                                        // 00000000660C: BF820322

0000000000006610 <label_1104>:
	s_waitcnt vmcnt(8) lgkmcnt(0)                              // 000000006610: BF8C0078
	s_barrier                                                  // 000000006614: BF8A0000
	v_mfma_i32_16x16x32_i8 v[112:115], a[32:33], v[80:81], 0   // 000000006618: D3D70070 0A02A120
	v_mfma_i32_16x16x32_i8 v[112:115], a[34:35], v[82:83], v[112:115]// 000000006620: D3D70070 0DC2A522
	v_mfma_i32_16x16x32_i8 v[112:115], a[36:37], v[84:85], v[112:115]// 000000006628: D3D70070 0DC2A924
	v_mfma_i32_16x16x32_i8 v[112:115], a[38:39], v[86:87], v[112:115]// 000000006630: D3D70070 0DC2AD26
	v_mfma_i32_16x16x32_i8 v[116:119], a[40:41], v[80:81], 0   // 000000006638: D3D70074 0A02A128
	v_mfma_i32_16x16x32_i8 v[116:119], a[42:43], v[82:83], v[116:119]// 000000006640: D3D70074 0DD2A52A
	v_mfma_i32_16x16x32_i8 v[116:119], a[44:45], v[84:85], v[116:119]// 000000006648: D3D70074 0DD2A92C
	v_mfma_i32_16x16x32_i8 v[116:119], a[46:47], v[86:87], v[116:119]// 000000006650: D3D70074 0DD2AD2E
	v_mfma_i32_16x16x32_i8 v[120:123], a[48:49], v[80:81], 0   // 000000006658: D3D70078 0A02A130
	v_mfma_i32_16x16x32_i8 v[120:123], a[50:51], v[82:83], v[120:123]// 000000006660: D3D70078 0DE2A532
	v_mfma_i32_16x16x32_i8 v[120:123], a[52:53], v[84:85], v[120:123]// 000000006668: D3D70078 0DE2A934
	v_mfma_i32_16x16x32_i8 v[120:123], a[54:55], v[86:87], v[120:123]// 000000006670: D3D70078 0DE2AD36
	v_mfma_i32_16x16x32_i8 v[124:127], a[56:57], v[80:81], 0   // 000000006678: D3D7007C 0A02A138
	v_mfma_i32_16x16x32_i8 v[124:127], a[58:59], v[82:83], v[124:127]// 000000006680: D3D7007C 0DF2A53A
	v_mfma_i32_16x16x32_i8 v[124:127], a[60:61], v[84:85], v[124:127]// 000000006688: D3D7007C 0DF2A93C
	v_mfma_i32_16x16x32_i8 v[124:127], a[62:63], v[86:87], v[124:127]// 000000006690: D3D7007C 0DF2AD3E
	v_mov_b32_dpp v64, v43 row_shr:4 row_mask:0xf bank_mask:0xf// 000000006698: 7E8002FA FF01142B
	v_mov_b32_dpp v65, v43 row_shl:4 row_mask:0xf bank_mask:0xf// 0000000066A0: 7E8202FA FF01042B
	v_cndmask_b32_e64 v248, v43, v64, s[44:45]                 // 0000000066A8: D10000F8 00B2812B
	v_cndmask_b32_e64 v249, v65, v43, s[44:45]                 // 0000000066B0: D10000F9 00B25741
	v_mov_b32_dpp v64, v248 row_shr:8 row_mask:0xf bank_mask:0xf// 0000000066B8: 7E8002FA FF0118F8
	v_mov_b32_dpp v65, v248 row_shl:8 row_mask:0xf bank_mask:0xf// 0000000066C0: 7E8202FA FF0108F8
	v_mov_b32_dpp v66, v249 row_shr:8 row_mask:0xf bank_mask:0xf// 0000000066C8: 7E8402FA FF0118F9
	v_mov_b32_dpp v67, v249 row_shl:8 row_mask:0xf bank_mask:0xf// 0000000066D0: 7E8602FA FF0108F9
	v_mov_b32_e32 v68, v248                                    // 0000000066D8: 7E8803F8
	v_mov_b32_e32 v69, v249                                    // 0000000066DC: 7E8A03F9
	v_cndmask_b32_e64 v248, v68, v64, s[42:43]                 // 0000000066E0: D10000F8 00AA8144
	v_cndmask_b32_e64 v250, v68, v65, s[78:79]                 // 0000000066E8: D10000FA 013A8344
	v_cndmask_b32_e64 v249, v69, v66, s[42:43]                 // 0000000066F0: D10000F9 00AA8545
	v_cndmask_b32_e64 v251, v69, v67, s[78:79]                 // 0000000066F8: D10000FB 013A8745
	v_mov_b32_dpp v64, v58 row_shr:4 row_mask:0xf bank_mask:0xf// 000000006700: 7E8002FA FF01143A
	v_mov_b32_dpp v65, v58 row_shl:4 row_mask:0xf bank_mask:0xf// 000000006708: 7E8202FA FF01043A
	v_cndmask_b32_e64 v252, v58, v64, s[44:45]                 // 000000006710: D10000FC 00B2813A
	v_cndmask_b32_e64 v253, v65, v58, s[44:45]                 // 000000006718: D10000FD 00B27541
	v_mov_b32_dpp v64, v252 row_shr:8 row_mask:0xf bank_mask:0xf// 000000006720: 7E8002FA FF0118FC
	v_mov_b32_dpp v65, v252 row_shl:8 row_mask:0xf bank_mask:0xf// 000000006728: 7E8202FA FF0108FC
	v_mov_b32_dpp v66, v253 row_shr:8 row_mask:0xf bank_mask:0xf// 000000006730: 7E8402FA FF0118FD
	v_mov_b32_dpp v67, v253 row_shl:8 row_mask:0xf bank_mask:0xf// 000000006738: 7E8602FA FF0108FD
	v_mov_b32_e32 v68, v252                                    // 000000006740: 7E8803FC
	v_mov_b32_e32 v69, v253                                    // 000000006744: 7E8A03FD
	v_cndmask_b32_e64 v252, v68, v64, s[42:43]                 // 000000006748: D10000FC 00AA8144
	v_cndmask_b32_e64 v254, v68, v65, s[78:79]                 // 000000006750: D10000FE 013A8344
	v_cndmask_b32_e64 v253, v69, v66, s[42:43]                 // 000000006758: D10000FD 00AA8545
	v_cndmask_b32_e64 v255, v69, v67, s[78:79]                 // 000000006760: D10000FF 013A8745
	v_cvt_f32_i32_e32 v112, v112                               // 000000006768: 7EE00B70
	v_cvt_f32_i32_e32 v113, v113                               // 00000000676C: 7EE20B71
	v_cvt_f32_i32_e32 v114, v114                               // 000000006770: 7EE40B72
	v_cvt_f32_i32_e32 v115, v115                               // 000000006774: 7EE60B73
	v_cvt_f32_i32_e32 v116, v116                               // 000000006778: 7EE80B74
	v_cvt_f32_i32_e32 v117, v117                               // 00000000677C: 7EEA0B75
	v_cvt_f32_i32_e32 v118, v118                               // 000000006780: 7EEC0B76
	v_cvt_f32_i32_e32 v119, v119                               // 000000006784: 7EEE0B77
	v_cvt_f32_i32_e32 v120, v120                               // 000000006788: 7EF00B78
	v_cvt_f32_i32_e32 v121, v121                               // 00000000678C: 7EF20B79
	v_cvt_f32_i32_e32 v122, v122                               // 000000006790: 7EF40B7A
	v_cvt_f32_i32_e32 v123, v123                               // 000000006794: 7EF60B7B
	v_cvt_f32_i32_e32 v124, v124                               // 000000006798: 7EF80B7C
	v_cvt_f32_i32_e32 v125, v125                               // 00000000679C: 7EFA0B7D
	v_cvt_f32_i32_e32 v126, v126                               // 0000000067A0: 7EFC0B7E
	v_cvt_f32_i32_e32 v127, v127                               // 0000000067A4: 7EFE0B7F
	v_mul_f32_e32 v112, v18, v112                              // 0000000067A8: 0AE0E112
	v_mul_f32_e32 v113, v18, v113                              // 0000000067AC: 0AE2E312
	v_mul_f32_e32 v114, v18, v114                              // 0000000067B0: 0AE4E512
	v_mul_f32_e32 v115, v18, v115                              // 0000000067B4: 0AE6E712
	v_mul_f32_e32 v116, v18, v116                              // 0000000067B8: 0AE8E912
	v_mul_f32_e32 v117, v18, v117                              // 0000000067BC: 0AEAEB12
	v_mul_f32_e32 v118, v18, v118                              // 0000000067C0: 0AECED12
	v_mul_f32_e32 v119, v18, v119                              // 0000000067C4: 0AEEEF12
	v_mul_f32_e32 v120, v18, v120                              // 0000000067C8: 0AF0F112
	v_mul_f32_e32 v121, v18, v121                              // 0000000067CC: 0AF2F312
	v_mul_f32_e32 v122, v18, v122                              // 0000000067D0: 0AF4F512
	v_mul_f32_e32 v123, v18, v123                              // 0000000067D4: 0AF6F712
	v_mul_f32_e32 v124, v18, v124                              // 0000000067D8: 0AF8F912
	v_mul_f32_e32 v125, v18, v125                              // 0000000067DC: 0AFAFB12
	v_mul_f32_e32 v126, v18, v126                              // 0000000067E0: 0AFCFD12
	v_mul_f32_e32 v127, v18, v127                              // 0000000067E4: 0AFEFF12
	v_mul_f32_dpp v112, v248, v112 quad_perm:[0,0,0,0] row_mask:0xf bank_mask:0xf// 0000000067E8: 0AE0E0FA FF0000F8
	v_mul_f32_dpp v113, v248, v113 quad_perm:[1,1,1,1] row_mask:0xf bank_mask:0xf// 0000000067F0: 0AE2E2FA FF0055F8
	v_mul_f32_dpp v114, v248, v114 quad_perm:[2,2,2,2] row_mask:0xf bank_mask:0xf// 0000000067F8: 0AE4E4FA FF00AAF8
	v_mul_f32_dpp v115, v248, v115 quad_perm:[3,3,3,3] row_mask:0xf bank_mask:0xf// 000000006800: 0AE6E6FA FF00FFF8
	v_mul_f32_dpp v116, v249, v116 quad_perm:[0,0,0,0] row_mask:0xf bank_mask:0xf// 000000006808: 0AE8E8FA FF0000F9
	v_mul_f32_dpp v117, v249, v117 quad_perm:[1,1,1,1] row_mask:0xf bank_mask:0xf// 000000006810: 0AEAEAFA FF0055F9
	v_mul_f32_dpp v118, v249, v118 quad_perm:[2,2,2,2] row_mask:0xf bank_mask:0xf// 000000006818: 0AECECFA FF00AAF9
	v_mul_f32_dpp v119, v249, v119 quad_perm:[3,3,3,3] row_mask:0xf bank_mask:0xf// 000000006820: 0AEEEEFA FF00FFF9
	v_mul_f32_dpp v120, v250, v120 quad_perm:[0,0,0,0] row_mask:0xf bank_mask:0xf// 000000006828: 0AF0F0FA FF0000FA
	v_mul_f32_dpp v121, v250, v121 quad_perm:[1,1,1,1] row_mask:0xf bank_mask:0xf// 000000006830: 0AF2F2FA FF0055FA
	v_mul_f32_dpp v122, v250, v122 quad_perm:[2,2,2,2] row_mask:0xf bank_mask:0xf// 000000006838: 0AF4F4FA FF00AAFA
	v_mul_f32_dpp v123, v250, v123 quad_perm:[3,3,3,3] row_mask:0xf bank_mask:0xf// 000000006840: 0AF6F6FA FF00FFFA
	v_mul_f32_dpp v124, v251, v124 quad_perm:[0,0,0,0] row_mask:0xf bank_mask:0xf// 000000006848: 0AF8F8FA FF0000FB
	v_mul_f32_dpp v125, v251, v125 quad_perm:[1,1,1,1] row_mask:0xf bank_mask:0xf// 000000006850: 0AFAFAFA FF0055FB
	v_mul_f32_dpp v126, v251, v126 quad_perm:[2,2,2,2] row_mask:0xf bank_mask:0xf// 000000006858: 0AFCFCFA FF00AAFB
	v_mul_f32_dpp v127, v251, v127 quad_perm:[3,3,3,3] row_mask:0xf bank_mask:0xf// 000000006860: 0AFEFEFA FF00FFFB
	s_cmp_le_i32 s90, s89                                      // 000000006868: BF05595A
	s_cbranch_scc1 label_120D                                  // 00000000686C: BF850071
	v_mov_b32_e32 v66, 0xff800000                              // 000000006870: 7E8402FF FF800000
	s_mov_b32 s60, s90                                         // 000000006878: BEBC005A
	s_add_u32 s61, s89, 0xff                                   // 00000000687C: 803DFF59 000000FF
	v_mov_b32_e32 v64, s61                                     // 000000006884: 7E80023D
	v_lshrrev_b32_e32 v240, 4, v0                              // 000000006888: 21E00084
	v_mul_i32_i24_e32 v240, 4, v240                            // 00000000688C: 0DE1E084
	v_add_u32_e32 v240, s60, v240                              // 000000006890: 69E1E03C
	s_mov_b32 s61, 0                                           // 000000006894: BEBD0080
	s_mul_i32 s60, 16, s7                                      // 000000006898: 923C0790
	v_sub_u32_e64 v240, v240, s61                              // 00000000689C: D13500F0 00007BF0
	v_add_u32_e32 v240, s60, v240                              // 0000000068A4: 69E1E03C
	v_add_u32_e32 v241, 1, v240                                // 0000000068A8: 69E3E081
	v_add_u32_e32 v242, 2, v240                                // 0000000068AC: 69E5E082
	v_add_u32_e32 v243, 3, v240                                // 0000000068B0: 69E7E083
	v_cmp_le_u32_e64 s[40:41], v240, v64                       // 0000000068B4: D0CB0028 000281F0
	v_add_u32_e32 v240, 64, v240                               // 0000000068BC: 69E1E0C0
	s_nop 0                                                    // 0000000068C0: BF800000
	v_cndmask_b32_e64 v112, v66, v112, s[40:41]                // 0000000068C4: D1000070 00A2E142
	v_cmp_le_u32_e64 s[40:41], v241, v64                       // 0000000068CC: D0CB0028 000281F1
	v_add_u32_e32 v241, 64, v241                               // 0000000068D4: 69E3E2C0
	s_nop 0                                                    // 0000000068D8: BF800000
	v_cndmask_b32_e64 v113, v66, v113, s[40:41]                // 0000000068DC: D1000071 00A2E342
	v_cmp_le_u32_e64 s[40:41], v242, v64                       // 0000000068E4: D0CB0028 000281F2
	v_add_u32_e32 v242, 64, v242                               // 0000000068EC: 69E5E4C0
	s_nop 0                                                    // 0000000068F0: BF800000
	v_cndmask_b32_e64 v114, v66, v114, s[40:41]                // 0000000068F4: D1000072 00A2E542
	v_cmp_le_u32_e64 s[40:41], v243, v64                       // 0000000068FC: D0CB0028 000281F3
	v_add_u32_e32 v243, 64, v243                               // 000000006904: 69E7E6C0
	s_nop 0                                                    // 000000006908: BF800000
	v_cndmask_b32_e64 v115, v66, v115, s[40:41]                // 00000000690C: D1000073 00A2E742
	v_cmp_le_u32_e64 s[40:41], v240, v64                       // 000000006914: D0CB0028 000281F0
	v_add_u32_e32 v240, 64, v240                               // 00000000691C: 69E1E0C0
	s_nop 0                                                    // 000000006920: BF800000
	v_cndmask_b32_e64 v116, v66, v116, s[40:41]                // 000000006924: D1000074 00A2E942
	v_cmp_le_u32_e64 s[40:41], v241, v64                       // 00000000692C: D0CB0028 000281F1
	v_add_u32_e32 v241, 64, v241                               // 000000006934: 69E3E2C0
	s_nop 0                                                    // 000000006938: BF800000
	v_cndmask_b32_e64 v117, v66, v117, s[40:41]                // 00000000693C: D1000075 00A2EB42
	v_cmp_le_u32_e64 s[40:41], v242, v64                       // 000000006944: D0CB0028 000281F2
	v_add_u32_e32 v242, 64, v242                               // 00000000694C: 69E5E4C0
	s_nop 0                                                    // 000000006950: BF800000
	v_cndmask_b32_e64 v118, v66, v118, s[40:41]                // 000000006954: D1000076 00A2ED42
	v_cmp_le_u32_e64 s[40:41], v243, v64                       // 00000000695C: D0CB0028 000281F3
	v_add_u32_e32 v243, 64, v243                               // 000000006964: 69E7E6C0
	s_nop 0                                                    // 000000006968: BF800000
	v_cndmask_b32_e64 v119, v66, v119, s[40:41]                // 00000000696C: D1000077 00A2EF42
	v_cmp_le_u32_e64 s[40:41], v240, v64                       // 000000006974: D0CB0028 000281F0
	v_add_u32_e32 v240, 64, v240                               // 00000000697C: 69E1E0C0
	s_nop 0                                                    // 000000006980: BF800000
	v_cndmask_b32_e64 v120, v66, v120, s[40:41]                // 000000006984: D1000078 00A2F142
	v_cmp_le_u32_e64 s[40:41], v241, v64                       // 00000000698C: D0CB0028 000281F1
	v_add_u32_e32 v241, 64, v241                               // 000000006994: 69E3E2C0
	s_nop 0                                                    // 000000006998: BF800000
	v_cndmask_b32_e64 v121, v66, v121, s[40:41]                // 00000000699C: D1000079 00A2F342
	v_cmp_le_u32_e64 s[40:41], v242, v64                       // 0000000069A4: D0CB0028 000281F2
	v_add_u32_e32 v242, 64, v242                               // 0000000069AC: 69E5E4C0
	s_nop 0                                                    // 0000000069B0: BF800000
	v_cndmask_b32_e64 v122, v66, v122, s[40:41]                // 0000000069B4: D100007A 00A2F542
	v_cmp_le_u32_e64 s[40:41], v243, v64                       // 0000000069BC: D0CB0028 000281F3
	v_add_u32_e32 v243, 64, v243                               // 0000000069C4: 69E7E6C0
	s_nop 0                                                    // 0000000069C8: BF800000
	v_cndmask_b32_e64 v123, v66, v123, s[40:41]                // 0000000069CC: D100007B 00A2F742
	v_cmp_le_u32_e64 s[40:41], v240, v64                       // 0000000069D4: D0CB0028 000281F0
	v_add_u32_e32 v240, 64, v240                               // 0000000069DC: 69E1E0C0
	s_nop 0                                                    // 0000000069E0: BF800000
	v_cndmask_b32_e64 v124, v66, v124, s[40:41]                // 0000000069E4: D100007C 00A2F942
	v_cmp_le_u32_e64 s[40:41], v241, v64                       // 0000000069EC: D0CB0028 000281F1
	v_add_u32_e32 v241, 64, v241                               // 0000000069F4: 69E3E2C0
	s_nop 0                                                    // 0000000069F8: BF800000
	v_cndmask_b32_e64 v125, v66, v125, s[40:41]                // 0000000069FC: D100007D 00A2FB42
	v_cmp_le_u32_e64 s[40:41], v242, v64                       // 000000006A04: D0CB0028 000281F2
	v_add_u32_e32 v242, 64, v242                               // 000000006A0C: 69E5E4C0
	s_nop 0                                                    // 000000006A10: BF800000
	v_cndmask_b32_e64 v126, v66, v126, s[40:41]                // 000000006A14: D100007E 00A2FD42
	v_cmp_le_u32_e64 s[40:41], v243, v64                       // 000000006A1C: D0CB0028 000281F3
	v_add_u32_e32 v243, 64, v243                               // 000000006A24: 69E7E6C0
	s_nop 0                                                    // 000000006A28: BF800000
	v_cndmask_b32_e64 v127, v66, v127, s[40:41]                // 000000006A2C: D100007F 00A2FF42

0000000000006a34 <label_120D>:
	s_add_u32 s90, s91, s90                                    // 000000006A34: 805A5A5B
	s_and_b32 s60, s72, 0xff                                   // 000000006A38: 863CFF48 000000FF
	v_mov_b32_e32 v65, s60                                     // 000000006A40: 7E82023C
	v_lshrrev_b32_e32 v240, 4, v0                              // 000000006A44: 21E00084
	v_mul_i32_i24_e32 v240, 4, v240                            // 000000006A48: 0DE1E084
	s_mul_i32 s60, s7, 16                                      // 000000006A4C: 923C9007
	v_add_u32_e32 v240, s60, v240                              // 000000006A50: 69E1E03C
	v_add_u32_e32 v241, 1, v240                                // 000000006A54: 69E3E081
	v_add_u32_e32 v242, 2, v240                                // 000000006A58: 69E5E082
	v_add_u32_e32 v243, 3, v240                                // 000000006A5C: 69E7E083
	v_mov_b32_e32 v64, 0xff800000                              // 000000006A60: 7E8002FF FF800000
	v_cmp_lt_u32_e64 s[40:41], v240, v65                       // 000000006A68: D0C90028 000283F0
	v_add_u32_e32 v240, 64, v240                               // 000000006A70: 69E1E0C0
	s_nop 0                                                    // 000000006A74: BF800000
	v_cndmask_b32_e64 v112, v64, v112, s[40:41]                // 000000006A78: D1000070 00A2E140
	v_cmp_lt_u32_e64 s[40:41], v241, v65                       // 000000006A80: D0C90028 000283F1
	v_add_u32_e32 v241, 64, v241                               // 000000006A88: 69E3E2C0
	s_nop 0                                                    // 000000006A8C: BF800000
	v_cndmask_b32_e64 v113, v64, v113, s[40:41]                // 000000006A90: D1000071 00A2E340
	v_cmp_lt_u32_e64 s[40:41], v242, v65                       // 000000006A98: D0C90028 000283F2
	v_add_u32_e32 v242, 64, v242                               // 000000006AA0: 69E5E4C0
	s_nop 0                                                    // 000000006AA4: BF800000
	v_cndmask_b32_e64 v114, v64, v114, s[40:41]                // 000000006AA8: D1000072 00A2E540
	v_cmp_lt_u32_e64 s[40:41], v243, v65                       // 000000006AB0: D0C90028 000283F3
	v_add_u32_e32 v243, 64, v243                               // 000000006AB8: 69E7E6C0
	s_nop 0                                                    // 000000006ABC: BF800000
	v_cndmask_b32_e64 v115, v64, v115, s[40:41]                // 000000006AC0: D1000073 00A2E740
	v_cmp_lt_u32_e64 s[40:41], v240, v65                       // 000000006AC8: D0C90028 000283F0
	v_add_u32_e32 v240, 64, v240                               // 000000006AD0: 69E1E0C0
	s_nop 0                                                    // 000000006AD4: BF800000
	v_cndmask_b32_e64 v116, v64, v116, s[40:41]                // 000000006AD8: D1000074 00A2E940
	v_cmp_lt_u32_e64 s[40:41], v241, v65                       // 000000006AE0: D0C90028 000283F1
	v_add_u32_e32 v241, 64, v241                               // 000000006AE8: 69E3E2C0
	s_nop 0                                                    // 000000006AEC: BF800000
	v_cndmask_b32_e64 v117, v64, v117, s[40:41]                // 000000006AF0: D1000075 00A2EB40
	v_cmp_lt_u32_e64 s[40:41], v242, v65                       // 000000006AF8: D0C90028 000283F2
	v_add_u32_e32 v242, 64, v242                               // 000000006B00: 69E5E4C0
	s_nop 0                                                    // 000000006B04: BF800000
	v_cndmask_b32_e64 v118, v64, v118, s[40:41]                // 000000006B08: D1000076 00A2ED40
	v_cmp_lt_u32_e64 s[40:41], v243, v65                       // 000000006B10: D0C90028 000283F3
	v_add_u32_e32 v243, 64, v243                               // 000000006B18: 69E7E6C0
	s_nop 0                                                    // 000000006B1C: BF800000
	v_cndmask_b32_e64 v119, v64, v119, s[40:41]                // 000000006B20: D1000077 00A2EF40
	v_cmp_lt_u32_e64 s[40:41], v240, v65                       // 000000006B28: D0C90028 000283F0
	v_add_u32_e32 v240, 64, v240                               // 000000006B30: 69E1E0C0
	s_nop 0                                                    // 000000006B34: BF800000
	v_cndmask_b32_e64 v120, v64, v120, s[40:41]                // 000000006B38: D1000078 00A2F140
	v_cmp_lt_u32_e64 s[40:41], v241, v65                       // 000000006B40: D0C90028 000283F1
	v_add_u32_e32 v241, 64, v241                               // 000000006B48: 69E3E2C0
	s_nop 0                                                    // 000000006B4C: BF800000
	v_cndmask_b32_e64 v121, v64, v121, s[40:41]                // 000000006B50: D1000079 00A2F340
	v_cmp_lt_u32_e64 s[40:41], v242, v65                       // 000000006B58: D0C90028 000283F2
	v_add_u32_e32 v242, 64, v242                               // 000000006B60: 69E5E4C0
	s_nop 0                                                    // 000000006B64: BF800000
	v_cndmask_b32_e64 v122, v64, v122, s[40:41]                // 000000006B68: D100007A 00A2F540
	v_cmp_lt_u32_e64 s[40:41], v243, v65                       // 000000006B70: D0C90028 000283F3
	v_add_u32_e32 v243, 64, v243                               // 000000006B78: 69E7E6C0
	s_nop 0                                                    // 000000006B7C: BF800000
	v_cndmask_b32_e64 v123, v64, v123, s[40:41]                // 000000006B80: D100007B 00A2F740
	v_cmp_lt_u32_e64 s[40:41], v240, v65                       // 000000006B88: D0C90028 000283F0
	v_add_u32_e32 v240, 64, v240                               // 000000006B90: 69E1E0C0
	s_nop 0                                                    // 000000006B94: BF800000
	v_cndmask_b32_e64 v124, v64, v124, s[40:41]                // 000000006B98: D100007C 00A2F940
	v_cmp_lt_u32_e64 s[40:41], v241, v65                       // 000000006BA0: D0C90028 000283F1
	v_add_u32_e32 v241, 64, v241                               // 000000006BA8: 69E3E2C0
	s_nop 0                                                    // 000000006BAC: BF800000
	v_cndmask_b32_e64 v125, v64, v125, s[40:41]                // 000000006BB0: D100007D 00A2FB40
	v_cmp_lt_u32_e64 s[40:41], v242, v65                       // 000000006BB8: D0C90028 000283F2
	v_add_u32_e32 v242, 64, v242                               // 000000006BC0: 69E5E4C0
	s_nop 0                                                    // 000000006BC4: BF800000
	v_cndmask_b32_e64 v126, v64, v126, s[40:41]                // 000000006BC8: D100007E 00A2FD40
	v_cmp_lt_u32_e64 s[40:41], v243, v65                       // 000000006BD0: D0C90028 000283F3
	v_add_u32_e32 v243, 64, v243                               // 000000006BD8: 69E7E6C0
	s_nop 0                                                    // 000000006BDC: BF800000
	v_cndmask_b32_e64 v127, v64, v127, s[40:41]                // 000000006BE0: D100007F 00A2FF40
	v_mov_b32_e32 v48, v112                                    // 000000006BE8: 7E600370
	v_max3_f32 v48, v112, v113, v48                            // 000000006BEC: D1D30030 04C2E370
	v_max3_f32 v48, v114, v115, v48                            // 000000006BF4: D1D30030 04C2E772
	v_max3_f32 v48, v116, v117, v48                            // 000000006BFC: D1D30030 04C2EB74
	v_max3_f32 v48, v118, v119, v48                            // 000000006C04: D1D30030 04C2EF76
	v_max3_f32 v48, v120, v121, v48                            // 000000006C0C: D1D30030 04C2F378
	v_max3_f32 v48, v122, v123, v48                            // 000000006C14: D1D30030 04C2F77A
	v_max3_f32 v48, v124, v125, v48                            // 000000006C1C: D1D30030 04C2FB7C
	v_max3_f32 v48, v126, v127, v48                            // 000000006C24: D1D30030 04C2FF7E
	ds_write_b32 v8, v48 offset:16896                          // 000000006C2C: D81A4200 00003008
	v_mul_u32_u24_dpp v64, v16, v54 row_newbcast:1 row_mask:0xf bank_mask:0xf// 000000006C34: 10806CFA FF015110
	v_mul_u32_u24_dpp v65, v16, v54 row_newbcast:5 row_mask:0xf bank_mask:0xf// 000000006C3C: 10826CFA FF015510
	v_mul_u32_u24_dpp v66, v16, v54 row_newbcast:9 row_mask:0xf bank_mask:0xf// 000000006C44: 10846CFA FF015910
	v_mul_u32_u24_dpp v67, v16, v54 row_newbcast:13 row_mask:0xf bank_mask:0xf// 000000006C4C: 10866CFA FF015D10
	v_add_u32_e32 v30, v64, v6                                 // 000000006C54: 683C0D40
	v_add_u32_e32 v31, v65, v6                                 // 000000006C58: 683E0D41
	v_add_u32_e32 v32, v66, v6                                 // 000000006C5C: 68400D42
	v_add_u32_e32 v33, v67, v6                                 // 000000006C60: 68420D43
	v_mul_f32_e32 v208, v49, v208                              // 000000006C64: 0BA1A131
	v_mul_f32_e32 v209, v49, v209                              // 000000006C68: 0BA3A331
	v_mul_f32_e32 v210, v49, v210                              // 000000006C6C: 0BA5A531
	v_mul_f32_e32 v211, v49, v211                              // 000000006C70: 0BA7A731
	v_mul_f32_e32 v212, v49, v212                              // 000000006C74: 0BA9A931
	v_mul_f32_e32 v213, v49, v213                              // 000000006C78: 0BABAB31
	v_mul_f32_e32 v214, v49, v214                              // 000000006C7C: 0BADAD31
	v_mul_f32_e32 v215, v49, v215                              // 000000006C80: 0BAFAF31
	s_waitcnt lgkmcnt(0)                                       // 000000006C84: BF8CC07F
	s_barrier                                                  // 000000006C88: BF8A0000
	ds_read_b32 v64, v7 offset:16896                           // 000000006C8C: D86C4200 40000007
	ds_read_b32 v65, v7 offset:16960                           // 000000006C94: D86C4240 41000007
	ds_read_b32 v66, v7 offset:17024                           // 000000006C9C: D86C4280 42000007
	ds_read_b32 v67, v7 offset:17088                           // 000000006CA4: D86C42C0 43000007
	ds_read_b32 v68, v7 offset:17152                           // 000000006CAC: D86C4300 44000007
	ds_read_b32 v69, v7 offset:17216                           // 000000006CB4: D86C4340 45000007
	ds_read_b32 v70, v7 offset:17280                           // 000000006CBC: D86C4380 46000007
	ds_read_b32 v71, v7 offset:17344                           // 000000006CC4: D86C43C0 47000007
	ds_read_b32 v72, v7 offset:17408                           // 000000006CCC: D86C4400 48000007
	ds_read_b32 v73, v7 offset:17472                           // 000000006CD4: D86C4440 49000007
	ds_read_b32 v74, v7 offset:17536                           // 000000006CDC: D86C4480 4A000007
	ds_read_b32 v75, v7 offset:17600                           // 000000006CE4: D86C44C0 4B000007
	ds_read_b32 v76, v7 offset:17664                           // 000000006CEC: D86C4500 4C000007
	ds_read_b32 v77, v7 offset:17728                           // 000000006CF4: D86C4540 4D000007
	ds_read_b32 v78, v7 offset:17792                           // 000000006CFC: D86C4580 4E000007
	ds_read_b32 v79, v7 offset:17856                           // 000000006D04: D86C45C0 4F000007
	v_cvt_f32_i32_e32 v176, v176                               // 000000006D0C: 7F600BB0
	v_cvt_f32_i32_e32 v177, v177                               // 000000006D10: 7F620BB1
	v_cvt_f32_i32_e32 v178, v178                               // 000000006D14: 7F640BB2
	v_cvt_f32_i32_e32 v179, v179                               // 000000006D18: 7F660BB3
	v_cvt_f32_i32_e32 v180, v180                               // 000000006D1C: 7F680BB4
	v_cvt_f32_i32_e32 v181, v181                               // 000000006D20: 7F6A0BB5
	v_cvt_f32_i32_e32 v182, v182                               // 000000006D24: 7F6C0BB6
	v_cvt_f32_i32_e32 v183, v183                               // 000000006D28: 7F6E0BB7
	v_mul_f32_e32 v176, v44, v176                              // 000000006D2C: 0B61612C
	v_mul_f32_e32 v177, v44, v177                              // 000000006D30: 0B63632C
	v_mul_f32_e32 v178, v44, v178                              // 000000006D34: 0B65652C
	v_mul_f32_e32 v179, v44, v179                              // 000000006D38: 0B67672C
	v_mul_f32_e32 v180, v44, v180                              // 000000006D3C: 0B69692C
	v_mul_f32_e32 v181, v44, v181                              // 000000006D40: 0B6B6B2C
	v_mul_f32_e32 v182, v44, v182                              // 000000006D44: 0B6D6D2C
	v_mul_f32_e32 v183, v44, v183                              // 000000006D48: 0B6F6F2C
	s_waitcnt lgkmcnt(0)                                       // 000000006D4C: BF8CC07F
	v_max3_f32 v48, v64, v65, v48                              // 000000006D50: D1D30030 04C28340
	v_max3_f32 v48, v66, v67, v48                              // 000000006D58: D1D30030 04C28742
	v_max3_f32 v48, v68, v69, v48                              // 000000006D60: D1D30030 04C28B44
	v_max3_f32 v48, v70, v71, v48                              // 000000006D68: D1D30030 04C28F46
	v_max3_f32 v48, v72, v73, v48                              // 000000006D70: D1D30030 04C29348
	v_max3_f32 v48, v74, v75, v48                              // 000000006D78: D1D30030 04C2974A
	v_max3_f32 v48, v76, v77, v48                              // 000000006D80: D1D30030 04C29B4C
	v_max3_f32 v48, v78, v79, v48                              // 000000006D88: D1D30030 04C29F4E
	v_mov_b32_e32 v64, 0xff800000                              // 000000006D90: 7E8002FF FF800000
	v_cmp_eq_u32_e64 s[40:41], v64, v11                        // 000000006D98: D0CA0028 00021740
	s_nop 1                                                    // 000000006DA0: BF800001
	v_max_f32_e32 v15, v48, v11                                // 000000006DA4: 161E1730
	v_mul_f32_e32 v53, s64, v15                                // 000000006DA8: 0A6A1E40
	v_fma_f32 v112, v112, s64, -v53                            // 000000006DAC: D1CB0070 84D48170
	v_fma_f32 v113, v113, s64, -v53                            // 000000006DB4: D1CB0071 84D48171
	v_fma_f32 v114, v114, s64, -v53                            // 000000006DBC: D1CB0072 84D48172
	v_fma_f32 v115, v115, s64, -v53                            // 000000006DC4: D1CB0073 84D48173
	v_fma_f32 v116, v116, s64, -v53                            // 000000006DCC: D1CB0074 84D48174
	v_fma_f32 v117, v117, s64, -v53                            // 000000006DD4: D1CB0075 84D48175
	v_fma_f32 v118, v118, s64, -v53                            // 000000006DDC: D1CB0076 84D48176
	v_fma_f32 v119, v119, s64, -v53                            // 000000006DE4: D1CB0077 84D48177
	v_fma_f32 v120, v120, s64, -v53                            // 000000006DEC: D1CB0078 84D48178
	v_fma_f32 v121, v121, s64, -v53                            // 000000006DF4: D1CB0079 84D48179
	v_fma_f32 v122, v122, s64, -v53                            // 000000006DFC: D1CB007A 84D4817A
	v_fma_f32 v123, v123, s64, -v53                            // 000000006E04: D1CB007B 84D4817B
	v_fma_f32 v124, v124, s64, -v53                            // 000000006E0C: D1CB007C 84D4817C
	v_fma_f32 v125, v125, s64, -v53                            // 000000006E14: D1CB007D 84D4817D
	v_fma_f32 v126, v126, s64, -v53                            // 000000006E1C: D1CB007E 84D4817E
	v_fma_f32 v127, v127, s64, -v53                            // 000000006E24: D1CB007F 84D4817F
	v_exp_f32_e32 v112, v112                                   // 000000006E2C: 7EE04170
	v_exp_f32_e32 v113, v113                                   // 000000006E30: 7EE24171
	v_exp_f32_e32 v114, v114                                   // 000000006E34: 7EE44172
	v_exp_f32_e32 v115, v115                                   // 000000006E38: 7EE64173
	v_exp_f32_e32 v116, v116                                   // 000000006E3C: 7EE84174
	v_exp_f32_e32 v117, v117                                   // 000000006E40: 7EEA4175
	v_exp_f32_e32 v118, v118                                   // 000000006E44: 7EEC4176
	v_exp_f32_e32 v119, v119                                   // 000000006E48: 7EEE4177
	v_exp_f32_e32 v120, v120                                   // 000000006E4C: 7EF04178
	v_exp_f32_e32 v121, v121                                   // 000000006E50: 7EF24179
	v_exp_f32_e32 v122, v122                                   // 000000006E54: 7EF4417A
	v_exp_f32_e32 v123, v123                                   // 000000006E58: 7EF6417B
	v_exp_f32_e32 v124, v124                                   // 000000006E5C: 7EF8417C
	v_exp_f32_e32 v125, v125                                   // 000000006E60: 7EFA417D
	v_exp_f32_e32 v126, v126                                   // 000000006E64: 7EFC417E
	v_exp_f32_e32 v127, v127                                   // 000000006E68: 7EFE417F
	v_mul_f32_dpp v240, v252, v112 quad_perm:[0,0,0,0] row_mask:0xf bank_mask:0xf// 000000006E6C: 0BE0E0FA FF0000FC
	v_mul_f32_dpp v241, v252, v113 quad_perm:[1,1,1,1] row_mask:0xf bank_mask:0xf// 000000006E74: 0BE2E2FA FF0055FC
	v_mul_f32_dpp v242, v252, v114 quad_perm:[2,2,2,2] row_mask:0xf bank_mask:0xf// 000000006E7C: 0BE4E4FA FF00AAFC
	v_mul_f32_dpp v243, v252, v115 quad_perm:[3,3,3,3] row_mask:0xf bank_mask:0xf// 000000006E84: 0BE6E6FA FF00FFFC
	v_mul_f32_dpp v244, v253, v116 quad_perm:[0,0,0,0] row_mask:0xf bank_mask:0xf// 000000006E8C: 0BE8E8FA FF0000FD
	v_mul_f32_dpp v245, v253, v117 quad_perm:[1,1,1,1] row_mask:0xf bank_mask:0xf// 000000006E94: 0BEAEAFA FF0055FD
	v_mul_f32_dpp v246, v253, v118 quad_perm:[2,2,2,2] row_mask:0xf bank_mask:0xf// 000000006E9C: 0BECECFA FF00AAFD
	v_mul_f32_dpp v247, v253, v119 quad_perm:[3,3,3,3] row_mask:0xf bank_mask:0xf// 000000006EA4: 0BEEEEFA FF00FFFD
	v_mul_f32_dpp v248, v254, v120 quad_perm:[0,0,0,0] row_mask:0xf bank_mask:0xf// 000000006EAC: 0BF0F0FA FF0000FE
	v_mul_f32_dpp v249, v254, v121 quad_perm:[1,1,1,1] row_mask:0xf bank_mask:0xf// 000000006EB4: 0BF2F2FA FF0055FE
	v_mul_f32_dpp v250, v254, v122 quad_perm:[2,2,2,2] row_mask:0xf bank_mask:0xf// 000000006EBC: 0BF4F4FA FF00AAFE
	v_mul_f32_dpp v251, v254, v123 quad_perm:[3,3,3,3] row_mask:0xf bank_mask:0xf// 000000006EC4: 0BF6F6FA FF00FFFE
	v_mul_f32_dpp v252, v255, v124 quad_perm:[0,0,0,0] row_mask:0xf bank_mask:0xf// 000000006ECC: 0BF8F8FA FF0000FF
	v_mul_f32_dpp v253, v255, v125 quad_perm:[1,1,1,1] row_mask:0xf bank_mask:0xf// 000000006ED4: 0BFAFAFA FF0055FF
	v_mul_f32_dpp v254, v255, v126 quad_perm:[2,2,2,2] row_mask:0xf bank_mask:0xf// 000000006EDC: 0BFCFCFA FF00AAFF
	v_mul_f32_dpp v255, v255, v127 quad_perm:[3,3,3,3] row_mask:0xf bank_mask:0xf// 000000006EE4: 0BFEFEFA FF00FFFF
	v_mov_b32_e32 v48, 0x358637bd                              // 000000006EEC: 7E6002FF 358637BD
	v_max3_f32 v48, |v240|, |v241|, v48                        // 000000006EF4: D1D30330 04C3E3F0
	v_max3_f32 v48, |v242|, |v243|, v48                        // 000000006EFC: D1D30330 04C3E7F2
	v_max3_f32 v48, |v244|, |v245|, v48                        // 000000006F04: D1D30330 04C3EBF4
	v_max3_f32 v48, |v246|, |v247|, v48                        // 000000006F0C: D1D30330 04C3EFF6
	v_max3_f32 v48, |v248|, |v249|, v48                        // 000000006F14: D1D30330 04C3F3F8
	v_max3_f32 v48, |v250|, |v251|, v48                        // 000000006F1C: D1D30330 04C3F7FA
	v_max3_f32 v48, |v252|, |v253|, v48                        // 000000006F24: D1D30330 04C3FBFC
	v_max3_f32 v48, |v254|, |v255|, v48                        // 000000006F2C: D1D30330 04C3FFFE
	ds_write_b32 v8, v48 offset:20992                          // 000000006F34: D81A5200 00003008
	v_sub_f32_e32 v49, v11, v15                                // 000000006F3C: 04621F0B
	v_cndmask_b32_e64 v49, v49, 0, s[40:41]                    // 000000006F40: D1000031 00A10131
	v_mov_b32_e32 v11, v15                                     // 000000006F48: 7E16030F
	v_mul_f32_e32 v49, s64, v49                                // 000000006F4C: 0A626240
	v_exp_f32_e32 v49, v49                                     // 000000006F50: 7E624131
	s_waitcnt lgkmcnt(0)                                       // 000000006F54: BF8CC07F
	s_barrier                                                  // 000000006F58: BF8A0000
	ds_read_b32 v64, v7 offset:20992                           // 000000006F5C: D86C5200 40000007
	ds_read_b32 v65, v7 offset:21056                           // 000000006F64: D86C5240 41000007
	ds_read_b32 v66, v7 offset:21120                           // 000000006F6C: D86C5280 42000007
	ds_read_b32 v67, v7 offset:21184                           // 000000006F74: D86C52C0 43000007
	ds_read_b32 v68, v7 offset:21248                           // 000000006F7C: D86C5300 44000007
	ds_read_b32 v69, v7 offset:21312                           // 000000006F84: D86C5340 45000007
	ds_read_b32 v70, v7 offset:21376                           // 000000006F8C: D86C5380 46000007
	ds_read_b32 v71, v7 offset:21440                           // 000000006F94: D86C53C0 47000007
	ds_read_b32 v72, v7 offset:21504                           // 000000006F9C: D86C5400 48000007
	ds_read_b32 v73, v7 offset:21568                           // 000000006FA4: D86C5440 49000007
	ds_read_b32 v74, v7 offset:21632                           // 000000006FAC: D86C5480 4A000007
	ds_read_b32 v75, v7 offset:21696                           // 000000006FB4: D86C54C0 4B000007
	ds_read_b32 v76, v7 offset:21760                           // 000000006FBC: D86C5500 4C000007
	ds_read_b32 v77, v7 offset:21824                           // 000000006FC4: D86C5540 4D000007
	ds_read_b32 v78, v7 offset:21888                           // 000000006FCC: D86C5580 4E000007
	ds_read_b32 v79, v7 offset:21952                           // 000000006FD4: D86C55C0 4F000007
	v_mul_f32_e32 v38, v49, v38                                // 000000006FDC: 0A4C4D31
	v_mov_b32_e32 v15, v112                                    // 000000006FE0: 7E1E0370
	v_add_f32_e32 v15, v113, v15                               // 000000006FE4: 021E1F71
	v_add_f32_e32 v15, v114, v15                               // 000000006FE8: 021E1F72
	v_add_f32_e32 v15, v115, v15                               // 000000006FEC: 021E1F73
	v_add_f32_e32 v15, v116, v15                               // 000000006FF0: 021E1F74
	v_add_f32_e32 v15, v117, v15                               // 000000006FF4: 021E1F75
	v_add_f32_e32 v15, v118, v15                               // 000000006FF8: 021E1F76
	v_add_f32_e32 v15, v119, v15                               // 000000006FFC: 021E1F77
	v_add_f32_e32 v15, v120, v15                               // 000000007000: 021E1F78
	v_add_f32_e32 v15, v121, v15                               // 000000007004: 021E1F79
	v_add_f32_e32 v15, v122, v15                               // 000000007008: 021E1F7A
	v_add_f32_e32 v15, v123, v15                               // 00000000700C: 021E1F7B
	v_add_f32_e32 v15, v124, v15                               // 000000007010: 021E1F7C
	v_add_f32_e32 v15, v125, v15                               // 000000007014: 021E1F7D
	v_add_f32_e32 v15, v126, v15                               // 000000007018: 021E1F7E
	v_add_f32_e32 v15, v127, v15                               // 00000000701C: 021E1F7F
	v_add_f32_e32 v38, v15, v38                                // 000000007020: 024C4D0F
	s_waitcnt lgkmcnt(0)                                       // 000000007024: BF8CC07F
	v_max3_f32 v48, |v64|, |v65|, v48                          // 000000007028: D1D30330 04C28340
	v_max3_f32 v48, |v66|, |v67|, v48                          // 000000007030: D1D30330 04C28742
	v_max3_f32 v48, |v68|, |v69|, v48                          // 000000007038: D1D30330 04C28B44
	v_max3_f32 v48, |v70|, |v71|, v48                          // 000000007040: D1D30330 04C28F46
	v_max3_f32 v48, |v72|, |v73|, v48                          // 000000007048: D1D30330 04C29348
	v_max3_f32 v48, |v74|, |v75|, v48                          // 000000007050: D1D30330 04C2974A
	v_max3_f32 v48, |v76|, |v77|, v48                          // 000000007058: D1D30330 04C29B4C
	v_max3_f32 v48, |v78|, |v79|, v48                          // 000000007060: D1D30330 04C29F4E
	s_nop 2                                                    // 000000007068: BF800002
	v_rcp_f32_e32 v48, v48                                     // 00000000706C: 7E604530
	s_nop 1                                                    // 000000007070: BF800001
	v_mul_f32_e32 v48, 0x42fe0000, v48                         // 000000007074: 0A6060FF 42FE0000
	v_mul_f32_e32 v112, v48, v240                              // 00000000707C: 0AE1E130
	v_mul_f32_e32 v113, v48, v241                              // 000000007080: 0AE3E330
	v_mul_f32_e32 v114, v48, v242                              // 000000007084: 0AE5E530
	v_mul_f32_e32 v115, v48, v243                              // 000000007088: 0AE7E730
	v_mul_f32_e32 v116, v48, v244                              // 00000000708C: 0AE9E930
	v_mul_f32_e32 v117, v48, v245                              // 000000007090: 0AEBEB30
	v_mul_f32_e32 v118, v48, v246                              // 000000007094: 0AEDED30
	v_mul_f32_e32 v119, v48, v247                              // 000000007098: 0AEFEF30
	v_mul_f32_e32 v120, v48, v248                              // 00000000709C: 0AF1F130
	v_mul_f32_e32 v121, v48, v249                              // 0000000070A0: 0AF3F330
	v_mul_f32_e32 v122, v48, v250                              // 0000000070A4: 0AF5F530
	v_mul_f32_e32 v123, v48, v251                              // 0000000070A8: 0AF7F730
	v_mul_f32_e32 v124, v48, v252                              // 0000000070AC: 0AF9F930
	v_mul_f32_e32 v125, v48, v253                              // 0000000070B0: 0AFBFB30
	v_mul_f32_e32 v126, v48, v254                              // 0000000070B4: 0AFDFD30
	v_mul_f32_e32 v127, v48, v255                              // 0000000070B8: 0AFFFF30
	v_cvt_i32_f32_e32 v112, v112                               // 0000000070BC: 7EE01170
	v_cvt_i32_f32_e32 v113, v113                               // 0000000070C0: 7EE21171
	v_cvt_i32_f32_e32 v114, v114                               // 0000000070C4: 7EE41172
	v_cvt_i32_f32_e32 v115, v115                               // 0000000070C8: 7EE61173
	v_cvt_i32_f32_e32 v116, v116                               // 0000000070CC: 7EE81174
	v_cvt_i32_f32_e32 v117, v117                               // 0000000070D0: 7EEA1175
	v_cvt_i32_f32_e32 v118, v118                               // 0000000070D4: 7EEC1176
	v_cvt_i32_f32_e32 v119, v119                               // 0000000070D8: 7EEE1177
	v_cvt_i32_f32_e32 v120, v120                               // 0000000070DC: 7EF01178
	v_cvt_i32_f32_e32 v121, v121                               // 0000000070E0: 7EF21179
	v_cvt_i32_f32_e32 v122, v122                               // 0000000070E4: 7EF4117A
	v_cvt_i32_f32_e32 v123, v123                               // 0000000070E8: 7EF6117B
	v_cvt_i32_f32_e32 v124, v124                               // 0000000070EC: 7EF8117C
	v_cvt_i32_f32_e32 v125, v125                               // 0000000070F0: 7EFA117D
	v_cvt_i32_f32_e32 v126, v126                               // 0000000070F4: 7EFC117E
	v_cvt_i32_f32_e32 v127, v127                               // 0000000070F8: 7EFE117F
	v_perm_b32 v112, v113, v112, s53                           // 0000000070FC: D1ED0070 00D6E171
	v_perm_b32 v112, v114, v112, s54                           // 000000007104: D1ED0070 00DAE172
	v_perm_b32 v112, v115, v112, s55                           // 00000000710C: D1ED0070 00DEE173
	v_perm_b32 v113, v117, v116, s53                           // 000000007114: D1ED0071 00D6E975
	v_perm_b32 v113, v118, v113, s54                           // 00000000711C: D1ED0071 00DAE376
	v_perm_b32 v113, v119, v113, s55                           // 000000007124: D1ED0071 00DEE377
	v_perm_b32 v114, v121, v120, s53                           // 00000000712C: D1ED0072 00D6F179
	v_perm_b32 v114, v122, v114, s54                           // 000000007134: D1ED0072 00DAE57A
	v_perm_b32 v114, v123, v114, s55                           // 00000000713C: D1ED0072 00DEE57B
	v_perm_b32 v115, v125, v124, s53                           // 000000007144: D1ED0073 00D6F97D
	v_perm_b32 v115, v126, v115, s54                           // 00000000714C: D1ED0073 00DAE77E
	v_perm_b32 v115, v127, v115, s55                           // 000000007154: D1ED0073 00DEE77F
	ds_write_b32 v10, v112 offset:25088                        // 00000000715C: D81A6200 0000700A
	ds_write_b32 v10, v113 offset:26112                        // 000000007164: D81A6600 0000710A
	ds_write_b32 v10, v114 offset:27136                        // 00000000716C: D81A6A00 0000720A
	ds_write_b32 v10, v115 offset:28160                        // 000000007174: D81A6E00 0000730A
	v_add_f32_e32 v208, v208, v176                             // 00000000717C: 03A161D0
	v_add_f32_e32 v209, v209, v177                             // 000000007180: 03A363D1
	v_add_f32_e32 v210, v210, v178                             // 000000007184: 03A565D2
	v_add_f32_e32 v211, v211, v179                             // 000000007188: 03A767D3
	v_add_f32_e32 v212, v212, v180                             // 00000000718C: 03A969D4
	v_add_f32_e32 v213, v213, v181                             // 000000007190: 03AB6BD5
	v_add_f32_e32 v214, v214, v182                             // 000000007194: 03AD6DD6
	v_add_f32_e32 v215, v215, v183                             // 000000007198: 03AF6FD7
	v_rcp_f32_e32 v44, v48                                     // 00000000719C: 7E584530
	s_waitcnt lgkmcnt(0)                                       // 0000000071A0: BF8CC07F
	s_barrier                                                  // 0000000071A4: BF8A0000
	ds_read_b64 v[112:113], v9 offset:25088                    // 0000000071A8: D8EC6200 70000009
	ds_read_b64 v[114:115], v9 offset:25216                    // 0000000071B0: D8EC6280 72000009
	ds_read_b64 v[116:117], v9 offset:26112                    // 0000000071B8: D8EC6600 74000009
	ds_read_b64 v[118:119], v9 offset:26240                    // 0000000071C0: D8EC6680 76000009
	ds_read_b64 v[120:121], v9 offset:27136                    // 0000000071C8: D8EC6A00 78000009
	ds_read_b64 v[122:123], v9 offset:27264                    // 0000000071D0: D8EC6A80 7A000009
	ds_read_b64 v[124:125], v9 offset:28160                    // 0000000071D8: D8EC6E00 7C000009
	ds_read_b64 v[126:127], v9 offset:28288                    // 0000000071E0: D8EC6E80 7E000009
	s_waitcnt vmcnt(0)                                         // 0000000071E8: BF8C0F70
	s_barrier                                                  // 0000000071EC: BF8A0000
	s_waitcnt lgkmcnt(7)                                       // 0000000071F0: BF8CC77F
	v_mfma_i32_16x16x32_i8 v[176:179], a[96:97], v[112:113], 0 // 0000000071F4: D3D700B0 0A02E160
	s_waitcnt lgkmcnt(6)                                       // 0000000071FC: BF8CC67F
	v_mfma_i32_16x16x32_i8 v[176:179], a[98:99], v[114:115], v[176:179]// 000000007200: D3D700B0 0EC2E562
	s_waitcnt lgkmcnt(5)                                       // 000000007208: BF8CC57F
	v_mfma_i32_16x16x32_i8 v[176:179], a[100:101], v[116:117], v[176:179]// 00000000720C: D3D700B0 0EC2E964
	s_waitcnt lgkmcnt(4)                                       // 000000007214: BF8CC47F
	v_mfma_i32_16x16x32_i8 v[176:179], a[102:103], v[118:119], v[176:179]// 000000007218: D3D700B0 0EC2ED66
	s_waitcnt lgkmcnt(3)                                       // 000000007220: BF8CC37F
	v_mfma_i32_16x16x32_i8 v[176:179], a[104:105], v[120:121], v[176:179]// 000000007224: D3D700B0 0EC2F168
	s_waitcnt lgkmcnt(2)                                       // 00000000722C: BF8CC27F
	v_mfma_i32_16x16x32_i8 v[176:179], a[106:107], v[122:123], v[176:179]// 000000007230: D3D700B0 0EC2F56A
	s_waitcnt lgkmcnt(1)                                       // 000000007238: BF8CC17F
	v_mfma_i32_16x16x32_i8 v[176:179], a[108:109], v[124:125], v[176:179]// 00000000723C: D3D700B0 0EC2F96C
	s_waitcnt lgkmcnt(0)                                       // 000000007244: BF8CC07F
	v_mfma_i32_16x16x32_i8 v[176:179], a[110:111], v[126:127], v[176:179]// 000000007248: D3D700B0 0EC2FD6E
	v_mfma_i32_16x16x32_i8 v[180:183], a[112:113], v[112:113], 0// 000000007250: D3D700B4 0A02E170
	v_mfma_i32_16x16x32_i8 v[180:183], a[114:115], v[114:115], v[180:183]// 000000007258: D3D700B4 0ED2E572
	v_mfma_i32_16x16x32_i8 v[180:183], a[116:117], v[116:117], v[180:183]// 000000007260: D3D700B4 0ED2E974
	v_mfma_i32_16x16x32_i8 v[180:183], a[118:119], v[118:119], v[180:183]// 000000007268: D3D700B4 0ED2ED76
	v_mfma_i32_16x16x32_i8 v[180:183], a[120:121], v[120:121], v[180:183]// 000000007270: D3D700B4 0ED2F178
	v_mfma_i32_16x16x32_i8 v[180:183], a[122:123], v[122:123], v[180:183]// 000000007278: D3D700B4 0ED2F57A
	v_mfma_i32_16x16x32_i8 v[180:183], a[124:125], v[124:125], v[180:183]// 000000007280: D3D700B4 0ED2F97C
	v_mfma_i32_16x16x32_i8 v[180:183], a[126:127], v[126:127], v[180:183]// 000000007288: D3D700B4 0ED2FD7E
	s_nop 4                                                    // 000000007290: BF800004
	s_branch label_1426                                        // 000000007294: BF820000

0000000000007298 <label_1426>:
	v_mul_f32_e32 v208, v49, v208                              // 000000007298: 0BA1A131
	v_mul_f32_e32 v209, v49, v209                              // 00000000729C: 0BA3A331
	v_mul_f32_e32 v210, v49, v210                              // 0000000072A0: 0BA5A531
	v_mul_f32_e32 v211, v49, v211                              // 0000000072A4: 0BA7A731
	v_mul_f32_e32 v212, v49, v212                              // 0000000072A8: 0BA9A931
	v_mul_f32_e32 v213, v49, v213                              // 0000000072AC: 0BABAB31
	v_mul_f32_e32 v214, v49, v214                              // 0000000072B0: 0BADAD31
	v_mul_f32_e32 v215, v49, v215                              // 0000000072B4: 0BAFAF31
	v_cvt_f32_i32_e32 v176, v176                               // 0000000072B8: 7F600BB0
	v_cvt_f32_i32_e32 v177, v177                               // 0000000072BC: 7F620BB1
	v_cvt_f32_i32_e32 v178, v178                               // 0000000072C0: 7F640BB2
	v_cvt_f32_i32_e32 v179, v179                               // 0000000072C4: 7F660BB3
	v_cvt_f32_i32_e32 v180, v180                               // 0000000072C8: 7F680BB4
	v_cvt_f32_i32_e32 v181, v181                               // 0000000072CC: 7F6A0BB5
	v_cvt_f32_i32_e32 v182, v182                               // 0000000072D0: 7F6C0BB6
	v_cvt_f32_i32_e32 v183, v183                               // 0000000072D4: 7F6E0BB7
	v_mul_f32_e32 v176, v44, v176                              // 0000000072D8: 0B61612C
	v_mul_f32_e32 v177, v44, v177                              // 0000000072DC: 0B63632C
	v_mul_f32_e32 v178, v44, v178                              // 0000000072E0: 0B65652C
	v_mul_f32_e32 v179, v44, v179                              // 0000000072E4: 0B67672C
	v_mul_f32_e32 v180, v44, v180                              // 0000000072E8: 0B69692C
	v_mul_f32_e32 v181, v44, v181                              // 0000000072EC: 0B6B6B2C
	v_mul_f32_e32 v182, v44, v182                              // 0000000072F0: 0B6D6D2C
	v_mul_f32_e32 v183, v44, v183                              // 0000000072F4: 0B6F6F2C
	v_add_f32_e32 v208, v208, v176                             // 0000000072F8: 03A161D0
	v_add_f32_e32 v209, v209, v177                             // 0000000072FC: 03A363D1
	v_add_f32_e32 v210, v210, v178                             // 000000007300: 03A565D2
	v_add_f32_e32 v211, v211, v179                             // 000000007304: 03A767D3
	v_add_f32_e32 v212, v212, v180                             // 000000007308: 03A969D4
	v_add_f32_e32 v213, v213, v181                             // 00000000730C: 03AB6BD5
	v_add_f32_e32 v214, v214, v182                             // 000000007310: 03AD6DD6
	v_add_f32_e32 v215, v215, v183                             // 000000007314: 03AF6FD7
	ds_write_b32 v8, v38 offset:16896                          // 000000007318: D81A4200 00002608
	s_waitcnt lgkmcnt(0)                                       // 000000007320: BF8CC07F
	s_barrier                                                  // 000000007324: BF8A0000
	ds_read_b32 v64, v7 offset:16896                           // 000000007328: D86C4200 40000007
	ds_read_b32 v65, v7 offset:16960                           // 000000007330: D86C4240 41000007
	ds_read_b32 v66, v7 offset:17024                           // 000000007338: D86C4280 42000007
	ds_read_b32 v67, v7 offset:17088                           // 000000007340: D86C42C0 43000007
	ds_read_b32 v68, v7 offset:17152                           // 000000007348: D86C4300 44000007
	ds_read_b32 v69, v7 offset:17216                           // 000000007350: D86C4340 45000007
	ds_read_b32 v70, v7 offset:17280                           // 000000007358: D86C4380 46000007
	ds_read_b32 v71, v7 offset:17344                           // 000000007360: D86C43C0 47000007
	ds_read_b32 v72, v7 offset:17408                           // 000000007368: D86C4400 48000007
	ds_read_b32 v73, v7 offset:17472                           // 000000007370: D86C4440 49000007
	ds_read_b32 v74, v7 offset:17536                           // 000000007378: D86C4480 4A000007
	ds_read_b32 v75, v7 offset:17600                           // 000000007380: D86C44C0 4B000007
	ds_read_b32 v76, v7 offset:17664                           // 000000007388: D86C4500 4C000007
	ds_read_b32 v77, v7 offset:17728                           // 000000007390: D86C4540 4D000007
	ds_read_b32 v78, v7 offset:17792                           // 000000007398: D86C4580 4E000007
	ds_read_b32 v79, v7 offset:17856                           // 0000000073A0: D86C45C0 4F000007
	s_waitcnt lgkmcnt(0)                                       // 0000000073A8: BF8CC07F
	v_mov_b32_e32 v38, 0                                       // 0000000073AC: 7E4C0280
	v_add_f32_e32 v38, v64, v38                                // 0000000073B0: 024C4D40
	v_add_f32_e32 v38, v65, v38                                // 0000000073B4: 024C4D41
	v_add_f32_e32 v38, v66, v38                                // 0000000073B8: 024C4D42
	v_add_f32_e32 v38, v67, v38                                // 0000000073BC: 024C4D43
	v_add_f32_e32 v38, v68, v38                                // 0000000073C0: 024C4D44
	v_add_f32_e32 v38, v69, v38                                // 0000000073C4: 024C4D45
	v_add_f32_e32 v38, v70, v38                                // 0000000073C8: 024C4D46
	v_add_f32_e32 v38, v71, v38                                // 0000000073CC: 024C4D47
	v_add_f32_e32 v38, v72, v38                                // 0000000073D0: 024C4D48
	v_add_f32_e32 v38, v73, v38                                // 0000000073D4: 024C4D49
	v_add_f32_e32 v38, v74, v38                                // 0000000073D8: 024C4D4A
	v_add_f32_e32 v38, v75, v38                                // 0000000073DC: 024C4D4B
	v_add_f32_e32 v38, v76, v38                                // 0000000073E0: 024C4D4C
	v_add_f32_e32 v38, v77, v38                                // 0000000073E4: 024C4D4D
	v_add_f32_e32 v38, v78, v38                                // 0000000073E8: 024C4D4E
	v_add_f32_e32 v38, v79, v38                                // 0000000073EC: 024C4D4F
	s_nop 1                                                    // 0000000073F0: BF800001
	v_rcp_f32_e32 v38, v38                                     // 0000000073F4: 7E4C4526
	s_nop 1                                                    // 0000000073F8: BF800001
	v_mul_f32_e32 v208, v38, v208                              // 0000000073FC: 0BA1A126
	v_mul_f32_e32 v209, v38, v209                              // 000000007400: 0BA3A326
	v_mul_f32_e32 v210, v38, v210                              // 000000007404: 0BA5A526
	v_mul_f32_e32 v211, v38, v211                              // 000000007408: 0BA7A726
	v_mul_f32_e32 v212, v38, v212                              // 00000000740C: 0BA9A926
	v_mul_f32_e32 v213, v38, v213                              // 000000007410: 0BABAB26
	v_mul_f32_e32 v214, v38, v214                              // 000000007414: 0BADAD26
	v_mul_f32_e32 v215, v38, v215                              // 000000007418: 0BAFAF26
	v_mov_b32_e32 v19, 0xffff0000                              // 00000000741C: 7E2602FF FFFF0000
	v_mov_b32_e32 v20, 0x7fff0000                              // 000000007424: 7E2802FF 7FFF0000
	v_mov_b32_e32 v21, 0x7fff                                  // 00000000742C: 7E2A02FF 00007FFF
	v_cmp_u_f32_e64 s[40:41], v208, v208                       // 000000007434: D0480028 0003A1D0
	v_add3_u32 v18, v208, v21, 1                               // 00000000743C: D1FF0012 02062BD0
	v_cndmask_b32_e64 v64, v18, v20, s[40:41]                  // 000000007444: D1000040 00A22912
	v_cmp_u_f32_e64 s[40:41], v209, v209                       // 00000000744C: D0480028 0003A3D1
	v_add3_u32 v18, v209, v21, 1                               // 000000007454: D1FF0012 02062BD1
	v_cndmask_b32_e64 v65, v18, v20, s[40:41]                  // 00000000745C: D1000041 00A22912
	v_perm_b32 v208, v65, v64, s52                             // 000000007464: D1ED00D0 00D28141
	v_cmp_u_f32_e64 s[40:41], v210, v210                       // 00000000746C: D0480028 0003A5D2
	v_add3_u32 v18, v210, v21, 1                               // 000000007474: D1FF0012 02062BD2
	v_cndmask_b32_e64 v64, v18, v20, s[40:41]                  // 00000000747C: D1000040 00A22912
	v_cmp_u_f32_e64 s[40:41], v211, v211                       // 000000007484: D0480028 0003A7D3
	v_add3_u32 v18, v211, v21, 1                               // 00000000748C: D1FF0012 02062BD3
	v_cndmask_b32_e64 v65, v18, v20, s[40:41]                  // 000000007494: D1000041 00A22912
	v_perm_b32 v209, v65, v64, s52                             // 00000000749C: D1ED00D1 00D28141
	v_cmp_u_f32_e64 s[40:41], v212, v212                       // 0000000074A4: D0480028 0003A9D4
	v_add3_u32 v18, v212, v21, 1                               // 0000000074AC: D1FF0012 02062BD4
	v_cndmask_b32_e64 v64, v18, v20, s[40:41]                  // 0000000074B4: D1000040 00A22912
	v_cmp_u_f32_e64 s[40:41], v213, v213                       // 0000000074BC: D0480028 0003ABD5
	v_add3_u32 v18, v213, v21, 1                               // 0000000074C4: D1FF0012 02062BD5
	v_cndmask_b32_e64 v65, v18, v20, s[40:41]                  // 0000000074CC: D1000041 00A22912
	v_perm_b32 v210, v65, v64, s52                             // 0000000074D4: D1ED00D2 00D28141
	v_cmp_u_f32_e64 s[40:41], v214, v214                       // 0000000074DC: D0480028 0003ADD6
	v_add3_u32 v18, v214, v21, 1                               // 0000000074E4: D1FF0012 02062BD6
	v_cndmask_b32_e64 v64, v18, v20, s[40:41]                  // 0000000074EC: D1000040 00A22912
	v_cmp_u_f32_e64 s[40:41], v215, v215                       // 0000000074F4: D0480028 0003AFD7
	v_add3_u32 v18, v215, v21, 1                               // 0000000074FC: D1FF0012 02062BD7
	v_cndmask_b32_e64 v65, v18, v20, s[40:41]                  // 000000007504: D1000041 00A22912
	v_perm_b32 v211, v65, v64, s52                             // 00000000750C: D1ED00D3 00D28141
	s_nop 1                                                    // 000000007514: BF800001
	v_lshrrev_b32_e32 v64, 4, v0                               // 000000007518: 20800084
	v_mul_i32_i24_e32 v68, 34, v64                             // 00000000751C: 0C8880A2
	v_and_b32_e32 v64, 15, v0                                  // 000000007520: 2680008F
	v_mul_i32_i24_e32 v65, 2, v64                              // 000000007524: 0C828082
	v_add_u32_e32 v68, v65, v68                                // 000000007528: 68888941
	s_mul_i32 s60, s7, 0x88                                    // 00000000752C: 923CFF07 00000088
	v_add_u32_e32 v68, s60, v68                                // 000000007534: 6888883C
	v_lshlrev_b32_e32 v68, 2, v68                              // 000000007538: 24888882
	ds_write_b64 v68, v[208:209] offset:41472                  // 00000000753C: D89AA200 0000D044
	ds_write_b64 v68, v[210:211] offset:43648                  // 000000007544: D89AAA80 0000D244
	v_lshrrev_b32_e32 v64, 1, v0                               // 00000000754C: 20800081
	v_mul_i32_i24_e32 v68, 34, v64                             // 000000007550: 0C8880A2
	v_and_b32_e32 v65, 1, v0                                   // 000000007554: 26820081
	v_add_u32_e32 v68, v65, v68                                // 000000007558: 68888941
	s_mul_i32 s60, s7, 2                                       // 00000000755C: 923C8207
	v_add_u32_e32 v68, s60, v68                                // 000000007560: 6888883C
	v_lshlrev_b32_e32 v68, 2, v68                              // 000000007564: 24888882
	s_waitcnt lgkmcnt(0)                                       // 000000007568: BF8CC07F
	s_barrier                                                  // 00000000756C: BF8A0000
	ds_read_b32 v208, v68 offset:41472                         // 000000007570: D86CA200 D0000044
	ds_read_b32 v209, v68 offset:41504                         // 000000007578: D86CA220 D1000044
	ds_read_b32 v210, v68 offset:41536                         // 000000007580: D86CA240 D2000044
	ds_read_b32 v211, v68 offset:41568                         // 000000007588: D86CA260 D3000044
	s_mul_i32 s60, s7, 0x100                                   // 000000007590: 923CFF07 00000100
	v_lshlrev_b32_e32 v64, 2, v0                               // 000000007598: 24800082
	v_add_u32_e64 v64, v64, s60                                // 00000000759C: D1340040 00007940
	s_waitcnt lgkmcnt(0)                                       // 0000000075A4: BF8CC07F
	buffer_store_dword v208, v64, s[8:11], 0 offen             // 0000000075A8: E0701000 8002D040
	buffer_store_dword v209, v64, s[8:11], 0 offen offset:1024 // 0000000075B0: E0701400 8002D140
	buffer_store_dword v210, v64, s[8:11], 0 offen offset:2048 // 0000000075B8: E0701800 8002D240
	buffer_store_dword v211, v64, s[8:11], 0 offen offset:3072 // 0000000075C0: E0701C00 8002D340
	s_add_u32 s8, s75, s8                                      // 0000000075C8: 8008084B
	s_addc_u32 s9, 0, s9                                       // 0000000075CC: 82090980
	s_branch label_3B26                                        // 0000000075D0: BF822631

00000000000075d4 <label_14F5>:
	s_mul_i32 s60, s3, s65                                     // 0000000075D4: 923C4103
	s_mul_i32 s60, s60, 4                                      // 0000000075D8: 923C843C
	s_add_u32 s24, s60, s24                                    // 0000000075DC: 8018183C
	s_addc_u32 s25, 0, s25                                     // 0000000075E0: 82191980
	s_mov_b32 s56, 64                                          // 0000000075E4: BEB800C0
	s_add_u32 s73, s72, 15                                     // 0000000075E8: 80498F48
	s_lshr_b32 s73, s73, 4                                     // 0000000075EC: 8F498449
	s_mul_i32 s60, s73, 4                                      // 0000000075F0: 923C8449
	s_mov_b32 s26, s60                                         // 0000000075F4: BE9A003C
	s_sub_u32 s89, s72, s86                                    // 0000000075F8: 80D95648
	s_mov_b32 s90, 0xff                                        // 0000000075FC: BEDA00FF 000000FF
	s_mov_b32 s91, 0x100                                       // 000000007604: BEDB00FF 00000100
	v_and_b32_e32 v65, 3, v0                                   // 00000000760C: 26820083
	v_cmp_eq_u32_e64 s[60:61], 0, v65                          // 000000007610: D0CA003C 00028280
	v_and_b32_e32 v64, 12, v0                                  // 000000007618: 2680008C
	v_add_u32_e32 v1, s7, v64                                  // 00000000761C: 68028007
	v_cndmask_b32_e64 v1, 0, v1, s[60:61]                      // 000000007620: D1000001 00F20280
	v_and_b32_e32 v65, 3, v0                                   // 000000007628: 26820083
	v_cmp_eq_u32_e64 s[60:61], 1, v65                          // 00000000762C: D0CA003C 00028281
	v_lshrrev_b32_e32 v64, 4, v0                               // 000000007634: 20800084
	v_and_b32_e32 v65, 12, v0                                  // 000000007638: 2682008C
	v_add_u32_e32 v64, v65, v64                                // 00000000763C: 68808141
	v_cndmask_b32_e64 v64, 0, v64, s[60:61]                    // 000000007640: D1000040 00F28080
	v_add_u32_e32 v1, v1, v64                                  // 000000007648: 68028101
	v_lshlrev_b32_e32 v1, 2, v1                                // 00000000764C: 24020282
	buffer_load_dword v16, v1, s[24:27], 0 offen               // 000000007650: E0501000 80061001
	v_add_u32_e32 v1, s56, v1                                  // 000000007658: 68020238
	buffer_load_dword v17, v1, s[24:27], 0 offen               // 00000000765C: E0501000 80061101
	s_cmp_le_u32 s73, 32                                       // 000000007664: BF0BA049
	s_cselect_b32 s56, 0, s56                                  // 000000007668: 85383880
	s_mul_i32 s60, s2, s67                                     // 00000000766C: 923C4302
	s_mul_i32 s61, s84, s74                                    // 000000007670: 923D4A54
	s_add_u32 s60, s60, s61                                    // 000000007674: 803C3D3C
	s_add_u32 s12, s60, s12                                    // 000000007678: 800C0C3C
	s_addc_u32 s13, 0, s13                                     // 00000000767C: 820D0D80
	s_mul_i32 s60, s7, 0x108                                   // 000000007680: 923CFF07 00000108
	s_add_u32 m0, 0, s60                                       // 000000007688: 807C3C80
	s_mul_i32 s60, s7, 0x100                                   // 00000000768C: 923CFF07 00000100
	v_lshlrev_b32_e32 v64, 2, v0                               // 000000007694: 24800082
	v_add_u32_e64 v64, v64, s60                                // 000000007698: D1340040 00007940
	v_add_u32_e32 v65, 0x400, v64                              // 0000000076A0: 688280FF 00000400
	v_add_u32_e32 v66, 0x800, v64                              // 0000000076A8: 688480FF 00000800
	v_add_u32_e32 v67, 0xc00, v64                              // 0000000076B0: 688680FF 00000C00
	buffer_load_dword v64, s[12:15], 0 offen lds               // 0000000076B8: E0511000 80030040
	s_mul_i32 s60, 4, 0x108                                    // 0000000076C0: 923CFF84 00000108
	s_add_u32 m0, m0, s60                                      // 0000000076C8: 807C3C7C
	buffer_load_dword v65, s[12:15], 0 offen lds               // 0000000076CC: E0511000 80030041
	s_mul_i32 s60, 4, 0x108                                    // 0000000076D4: 923CFF84 00000108
	s_add_u32 m0, m0, s60                                      // 0000000076DC: 807C3C7C
	buffer_load_dword v66, s[12:15], 0 offen lds               // 0000000076E0: E0511000 80030042
	s_mul_i32 s60, 4, 0x108                                    // 0000000076E8: 923CFF84 00000108
	s_add_u32 m0, m0, s60                                      // 0000000076F0: 807C3C7C
	buffer_load_dword v67, s[12:15], 0 offen lds               // 0000000076F4: E0511000 80030043
	s_mul_i32 s60, 4, 0x108                                    // 0000000076FC: 923CFF84 00000108
	s_add_u32 m0, m0, s60                                      // 000000007704: 807C3C7C
	s_add_u32 s12, s74, s12                                    // 000000007708: 800C0C4A
	s_addc_u32 s13, 0, s13                                     // 00000000770C: 820D0D80
	buffer_load_dword v64, s[12:15], 0 offen lds               // 000000007710: E0511000 80030040
	s_mul_i32 s60, 4, 0x108                                    // 000000007718: 923CFF84 00000108
	s_add_u32 m0, m0, s60                                      // 000000007720: 807C3C7C
	buffer_load_dword v65, s[12:15], 0 offen lds               // 000000007724: E0511000 80030041
	s_mul_i32 s60, 4, 0x108                                    // 00000000772C: 923CFF84 00000108
	s_add_u32 m0, m0, s60                                      // 000000007734: 807C3C7C
	buffer_load_dword v66, s[12:15], 0 offen lds               // 000000007738: E0511000 80030042
	s_mul_i32 s60, 4, 0x108                                    // 000000007740: 923CFF84 00000108
	s_add_u32 m0, m0, s60                                      // 000000007748: 807C3C7C
	buffer_load_dword v67, s[12:15], 0 offen lds               // 00000000774C: E0511000 80030043
	s_mul_i32 s60, 4, 0x108                                    // 000000007754: 923CFF84 00000108
	s_add_u32 m0, m0, s60                                      // 00000000775C: 807C3C7C
	s_add_u32 s12, s74, s12                                    // 000000007760: 800C0C4A
	s_addc_u32 s13, 0, s13                                     // 000000007764: 820D0D80
	v_lshrrev_b32_e32 v64, 4, v0                               // 000000007768: 20800084
	v_lshlrev_b32_e32 v64, 2, v64                              // 00000000776C: 24808082
	v_and_b32_e32 v65, 3, v0                                   // 000000007770: 26820083
	v_add_u32_e32 v64, v65, v64                                // 000000007774: 68808141
	v_lshlrev_b32_e32 v59, 2, v64                              // 000000007778: 24768082
	v_mov_b32_e32 v60, v59                                     // 00000000777C: 7E78033B
	s_mul_i32 s60, s2, 64                                      // 000000007780: 923CC002
	s_add_u32 s32, s60, s32                                    // 000000007784: 8020203C
	s_addc_u32 s33, 0, s33                                     // 000000007788: 82212180
	s_add_u32 s36, s60, s36                                    // 00000000778C: 8024243C
	s_addc_u32 s37, 0, s37                                     // 000000007790: 82252580
	s_mul_i32 s60, s2, s76                                     // 000000007794: 923C4C02
	s_mul_i32 s61, s84, s75                                    // 000000007798: 923D4B54
	s_add_u32 s60, s60, s61                                    // 00000000779C: 803C3D3C
	s_add_u32 s8, s60, s8                                      // 0000000077A0: 8008083C
	s_addc_u32 s9, 0, s9                                       // 0000000077A4: 82090980
	s_mov_b32 s70, 0                                           // 0000000077A8: BEC60080
	s_and_b32 s71, s72, 0xffffff00                             // 0000000077AC: 8647FF48 FFFFFF00
	s_mov_b32 s42, 0xff00ff00                                  // 0000000077B4: BEAA00FF FF00FF00
	s_mov_b32 s43, 0xff00ff00                                  // 0000000077BC: BEAB00FF FF00FF00
	s_mov_b32 s44, 0xf0f0f0f0                                  // 0000000077C4: BEAC00FF F0F0F0F0
	s_mov_b32 s45, 0xf0f0f0f0                                  // 0000000077CC: BEAD00FF F0F0F0F0
	s_mov_b32 s78, 0xff00ff                                    // 0000000077D4: BECE00FF 00FF00FF
	s_mov_b32 s79, 0xff00ff                                    // 0000000077DC: BECF00FF 00FF00FF
	v_mul_i32_i24_e64 v63, 64, s66                             // 0000000077E4: D106003F 000084C0
	v_mov_b32_e32 v54, s68                                     // 0000000077EC: 7E6C0244
	s_mov_b32 s52, 0x7060302                                   // 0000000077F0: BEB400FF 07060302
	s_mov_b32 s53, 0x400                                       // 0000000077F8: BEB500FF 00000400
	s_mov_b32 s54, 0x40100                                     // 000000007800: BEB600FF 00040100
	s_mov_b32 s55, 0x4020100                                   // 000000007808: BEB700FF 04020100
	s_mov_b32 s6, 0x3fb8aa3b                                   // 000000007810: BE8600FF 3FB8AA3B
	v_mov_b32_e32 v11, 0xff800000                              // 000000007818: 7E1602FF FF800000
	v_mov_b32_e32 v12, 0xff800000                              // 000000007820: 7E1802FF FF800000
	v_mov_b32_e32 v49, 0                                       // 000000007828: 7E620280
	v_mov_b32_e32 v50, 0                                       // 00000000782C: 7E640280
	v_mov_b32_e32 v38, 0                                       // 000000007830: 7E4C0280
	v_mov_b32_e32 v39, 0                                       // 000000007834: 7E4E0280
	v_mov_b32_e32 v44, 0                                       // 000000007838: 7E580280
	v_mov_b32_e32 v45, 0                                       // 00000000783C: 7E5A0280
	v_add_u32_e32 v1, s56, v1                                  // 000000007840: 68020238
	v_and_b32_e32 v7, 15, v0                                   // 000000007844: 260E008F
	v_lshlrev_b32_e32 v7, 2, v7                                // 000000007848: 240E0E82
	v_lshlrev_b32_e32 v8, 2, v0                                // 00000000784C: 24100082
	s_mul_i32 s60, 0x100, s7                                   // 000000007850: 923C07FF 00000100
	v_add_u32_e32 v8, s60, v8                                  // 000000007858: 6810103C
	v_lshrrev_b32_e32 v64, 4, v0                               // 00000000785C: 20800084
	v_lshlrev_b32_e32 v65, 6, v64                              // 000000007860: 24828086
	v_and_b32_e32 v64, 15, v0                                  // 000000007864: 2680008F
	v_lshlrev_b32_e32 v64, 1, v64                              // 000000007868: 24808081
	v_add_u32_e32 v65, v64, v65                                // 00000000786C: 68828340
	v_lshlrev_b32_e32 v9, 2, v65                               // 000000007870: 24128282
	v_lshrrev_b32_e32 v64, 5, v0                               // 000000007874: 20800085
	v_lshlrev_b32_e32 v65, 5, v64                              // 000000007878: 24828085
	v_and_b32_e32 v64, 31, v0                                  // 00000000787C: 2680009F
	v_lshrrev_b32_e32 v66, 4, v64                              // 000000007880: 20848084
	v_add_u32_e32 v65, v66, v65                                // 000000007884: 68828342
	v_and_b32_e32 v64, 15, v0                                  // 000000007888: 2680008F
	v_lshlrev_b32_e32 v64, 1, v64                              // 00000000788C: 24808081
	v_add_u32_e32 v65, v64, v65                                // 000000007890: 68828340
	v_lshlrev_b32_e32 v64, 2, v65                              // 000000007894: 24808282
	s_mul_i32 s60, 0x100, s7                                   // 000000007898: 923C07FF 00000100
	v_add_u32_e64 v10, v64, s60                                // 0000000078A0: D134000A 00007940
	v_lshlrev_b32_e32 v5, 4, v0                                // 0000000078A8: 240A0084
	s_mul_i32 s60, s2, s69                                     // 0000000078AC: 923C4502
	s_add_u32 s16, s60, s16                                    // 0000000078B0: 8010103C
	s_addc_u32 s17, 0, s17                                     // 0000000078B4: 82111180
	v_and_b32_e32 v64, 15, v0                                  // 0000000078B8: 2680008F
	v_lshlrev_b32_e32 v6, 4, v64                               // 0000000078BC: 240C8084
	s_mul_i32 s61, s2, s69                                     // 0000000078C0: 923D4502
	s_mul_i32 s60, s7, 0x100                                   // 0000000078C4: 923CFF07 00000100
	s_add_u32 s60, s60, s61                                    // 0000000078CC: 803C3D3C
	s_add_u32 s20, s60, s20                                    // 0000000078D0: 8014143C
	s_addc_u32 s21, 0, s21                                     // 0000000078D4: 82151580
	s_waitcnt vmcnt(4)                                         // 0000000078D8: BF8C0F74
	v_mul_u32_u24_dpp v64, v16, v54 row_newbcast:0 row_mask:0xf bank_mask:0xf// 0000000078DC: 10806CFA FF015010
	v_mul_u32_u24_dpp v65, v16, v54 row_newbcast:4 row_mask:0xf bank_mask:0xf// 0000000078E4: 10826CFA FF015410
	v_mul_u32_u24_dpp v66, v16, v54 row_newbcast:8 row_mask:0xf bank_mask:0xf// 0000000078EC: 10846CFA FF015810
	v_mul_u32_u24_dpp v67, v16, v54 row_newbcast:12 row_mask:0xf bank_mask:0xf// 0000000078F4: 10866CFA FF015C10
	v_add_u32_e32 v22, v64, v5                                 // 0000000078FC: 682C0B40
	v_add_u32_e32 v23, v65, v5                                 // 000000007900: 682E0B41
	v_add_u32_e32 v24, v66, v5                                 // 000000007904: 68300B42
	v_add_u32_e32 v25, v67, v5                                 // 000000007908: 68320B43
	v_mul_u32_u24_dpp v64, v16, v54 row_newbcast:1 row_mask:0xf bank_mask:0xf// 00000000790C: 10806CFA FF015110
	v_mul_u32_u24_dpp v65, v16, v54 row_newbcast:5 row_mask:0xf bank_mask:0xf// 000000007914: 10826CFA FF015510
	v_mul_u32_u24_dpp v66, v16, v54 row_newbcast:9 row_mask:0xf bank_mask:0xf// 00000000791C: 10846CFA FF015910
	v_mul_u32_u24_dpp v67, v16, v54 row_newbcast:13 row_mask:0xf bank_mask:0xf// 000000007924: 10866CFA FF015D10
	v_add_u32_e32 v30, v64, v6                                 // 00000000792C: 683C0D40
	v_add_u32_e32 v31, v65, v6                                 // 000000007930: 683E0D41
	v_add_u32_e32 v32, v66, v6                                 // 000000007934: 68400D42
	v_add_u32_e32 v33, v67, v6                                 // 000000007938: 68420D43
	v_mul_u32_u24_dpp v64, v16, v63 quad_perm:[0,0,0,0] row_mask:0xf bank_mask:0xf// 00000000793C: 10807EFA FF000010
	v_add_u32_e32 v2, v64, v59                                 // 000000007944: 68047740
	v_mul_u32_u24_dpp v64, v16, v63 quad_perm:[0,0,0,0] row_mask:0xf bank_mask:0xf// 000000007948: 10807EFA FF000010
	v_add_u32_e32 v55, v64, v60                                // 000000007950: 686E7940
	buffer_load_dword v42, v2, s[32:35], 0 offen               // 000000007954: E0501000 80082A02
	buffer_load_dwordx4 a[0:3], v22, s[16:19], 0 offen         // 00000000795C: E05C1000 80840016
	buffer_load_dwordx4 a[4:7], v22, s[16:19], 0 offen offset:1024// 000000007964: E05C1400 80840416
	buffer_load_dwordx4 a[8:11], v23, s[16:19], 0 offen        // 00000000796C: E05C1000 80840817
	buffer_load_dwordx4 a[12:15], v23, s[16:19], 0 offen offset:1024// 000000007974: E05C1400 80840C17
	buffer_load_dwordx4 a[16:19], v24, s[16:19], 0 offen       // 00000000797C: E05C1000 80841018
	buffer_load_dwordx4 a[20:23], v24, s[16:19], 0 offen offset:1024// 000000007984: E05C1400 80841418
	buffer_load_dwordx4 a[24:27], v25, s[16:19], 0 offen       // 00000000798C: E05C1000 80841819
	buffer_load_dwordx4 a[28:31], v25, s[16:19], 0 offen offset:1024// 000000007994: E05C1400 80841C19
	buffer_load_dword v57, v55, s[36:39], 0 offen              // 00000000799C: E0501000 80093937
	buffer_load_dwordx4 a[64:67], v30, s[20:23], 0 offen       // 0000000079A4: E05C1000 8085401E
	buffer_load_dwordx4 a[68:71], v31, s[20:23], 0 offen       // 0000000079AC: E05C1000 8085441F
	buffer_load_dwordx4 a[72:75], v32, s[20:23], 0 offen       // 0000000079B4: E05C1000 80854820
	buffer_load_dwordx4 a[76:79], v33, s[20:23], 0 offen       // 0000000079BC: E05C1000 80854C21
	buffer_load_dwordx4 a[80:83], v30, s[20:23], 0 offen offset:1024// 0000000079C4: E05C1400 8085501E
	buffer_load_dwordx4 a[84:87], v31, s[20:23], 0 offen offset:1024// 0000000079CC: E05C1400 8085541F
	buffer_load_dwordx4 a[88:91], v32, s[20:23], 0 offen offset:1024// 0000000079D4: E05C1400 80855820
	buffer_load_dwordx4 a[92:95], v33, s[20:23], 0 offen offset:1024// 0000000079DC: E05C1400 80855C21
	v_lshrrev_b32_e32 v64, 4, v0                               // 0000000079E4: 20800084
	v_lshlrev_b32_e32 v65, 1, v64                              // 0000000079E8: 24828081
	v_and_b32_e32 v64, 15, v0                                  // 0000000079EC: 2680008F
	v_mul_i32_i24_e32 v64, 0x42, v64                           // 0000000079F0: 0C8080FF 00000042
	v_add_u32_e32 v65, v64, v65                                // 0000000079F8: 68828340
	v_lshlrev_b32_e32 v4, 2, v65                               // 0000000079FC: 24088282
	s_mul_i32 s60, s7, 32                                      // 000000007A00: 923CA007
	v_add_u32_e32 v4, s60, v4                                  // 000000007A04: 6808083C
	s_waitcnt vmcnt(16) lgkmcnt(0)                             // 000000007A08: BF8C4070
	s_barrier                                                  // 000000007A0C: BF8A0000
	ds_read_b64 v[80:81], v4                                   // 000000007A10: D8EC0000 50000004
	ds_read_b64 v[84:85], v4 offset:128                        // 000000007A18: D8EC0080 54000004
	s_waitcnt lgkmcnt(0)                                       // 000000007A20: BF8CC07F
	v_and_b32_e32 v83, 0xffff0000, v81                         // 000000007A24: 26A6A2FF FFFF0000
	v_lshlrev_b32_e32 v82, 16, v81                             // 000000007A2C: 24A4A290
	v_and_b32_e32 v81, 0xffff0000, v80                         // 000000007A30: 26A2A0FF FFFF0000
	v_lshlrev_b32_e32 v80, 16, v80                             // 000000007A38: 24A0A090
	v_and_b32_e32 v87, 0xffff0000, v85                         // 000000007A3C: 26AEAAFF FFFF0000
	v_lshlrev_b32_e32 v86, 16, v85                             // 000000007A44: 24ACAA90
	v_and_b32_e32 v85, 0xffff0000, v84                         // 000000007A48: 26AAA8FF FFFF0000
	v_lshlrev_b32_e32 v84, 16, v84                             // 000000007A50: 24A8A890
	v_mov_b32_e32 v48, 0x358637bd                              // 000000007A54: 7E6002FF 358637BD
	v_max3_f32 v48, |v80|, |v81|, v48                          // 000000007A5C: D1D30330 04C2A350
	v_max3_f32 v48, |v82|, |v83|, v48                          // 000000007A64: D1D30330 04C2A752
	v_max3_f32 v48, |v84|, |v85|, v48                          // 000000007A6C: D1D30330 04C2AB54
	v_max3_f32 v48, |v86|, |v87|, v48                          // 000000007A74: D1D30330 04C2AF56
	ds_write_b32 v8, v48 offset:16896                          // 000000007A7C: D81A4200 00003008
	s_waitcnt lgkmcnt(0)                                       // 000000007A84: BF8CC07F
	s_barrier                                                  // 000000007A88: BF8A0000
	ds_read_b32 v64, v7 offset:16896                           // 000000007A8C: D86C4200 40000007
	ds_read_b32 v65, v7 offset:16960                           // 000000007A94: D86C4240 41000007
	ds_read_b32 v66, v7 offset:17024                           // 000000007A9C: D86C4280 42000007
	ds_read_b32 v67, v7 offset:17088                           // 000000007AA4: D86C42C0 43000007
	ds_read_b32 v68, v7 offset:17152                           // 000000007AAC: D86C4300 44000007
	ds_read_b32 v69, v7 offset:17216                           // 000000007AB4: D86C4340 45000007
	ds_read_b32 v70, v7 offset:17280                           // 000000007ABC: D86C4380 46000007
	ds_read_b32 v71, v7 offset:17344                           // 000000007AC4: D86C43C0 47000007
	ds_read_b32 v72, v7 offset:17408                           // 000000007ACC: D86C4400 48000007
	ds_read_b32 v73, v7 offset:17472                           // 000000007AD4: D86C4440 49000007
	ds_read_b32 v74, v7 offset:17536                           // 000000007ADC: D86C4480 4A000007
	ds_read_b32 v75, v7 offset:17600                           // 000000007AE4: D86C44C0 4B000007
	ds_read_b32 v76, v7 offset:17664                           // 000000007AEC: D86C4500 4C000007
	ds_read_b32 v77, v7 offset:17728                           // 000000007AF4: D86C4540 4D000007
	ds_read_b32 v78, v7 offset:17792                           // 000000007AFC: D86C4580 4E000007
	ds_read_b32 v79, v7 offset:17856                           // 000000007B04: D86C45C0 4F000007
	s_waitcnt lgkmcnt(0)                                       // 000000007B0C: BF8CC07F
	v_max3_f32 v48, |v64|, |v65|, v48                          // 000000007B10: D1D30330 04C28340
	v_max3_f32 v48, |v66|, |v67|, v48                          // 000000007B18: D1D30330 04C28742
	v_max3_f32 v48, |v68|, |v69|, v48                          // 000000007B20: D1D30330 04C28B44
	v_max3_f32 v48, |v70|, |v71|, v48                          // 000000007B28: D1D30330 04C28F46
	v_max3_f32 v48, |v72|, |v73|, v48                          // 000000007B30: D1D30330 04C29348
	v_max3_f32 v48, |v74|, |v75|, v48                          // 000000007B38: D1D30330 04C2974A
	v_max3_f32 v48, |v76|, |v77|, v48                          // 000000007B40: D1D30330 04C29B4C
	v_max3_f32 v48, |v78|, |v79|, v48                          // 000000007B48: D1D30330 04C29F4E
	v_rcp_f32_e32 v48, v48                                     // 000000007B50: 7E604530
	s_nop 1                                                    // 000000007B54: BF800001
	v_mul_f32_e32 v48, 0x42fe0000, v48                         // 000000007B58: 0A6060FF 42FE0000
	v_mul_f32_e32 v80, v48, v80                                // 000000007B60: 0AA0A130
	v_mul_f32_e32 v81, v48, v81                                // 000000007B64: 0AA2A330
	v_mul_f32_e32 v82, v48, v82                                // 000000007B68: 0AA4A530
	v_mul_f32_e32 v83, v48, v83                                // 000000007B6C: 0AA6A730
	v_mul_f32_e32 v84, v48, v84                                // 000000007B70: 0AA8A930
	v_mul_f32_e32 v85, v48, v85                                // 000000007B74: 0AAAAB30
	v_mul_f32_e32 v86, v48, v86                                // 000000007B78: 0AACAD30
	v_mul_f32_e32 v87, v48, v87                                // 000000007B7C: 0AAEAF30
	v_cvt_i32_f32_e32 v80, v80                                 // 000000007B80: 7EA01150
	v_cvt_i32_f32_e32 v81, v81                                 // 000000007B84: 7EA21151
	v_cvt_i32_f32_e32 v82, v82                                 // 000000007B88: 7EA41152
	v_cvt_i32_f32_e32 v83, v83                                 // 000000007B8C: 7EA61153
	v_cvt_i32_f32_e32 v84, v84                                 // 000000007B90: 7EA81154
	v_cvt_i32_f32_e32 v85, v85                                 // 000000007B94: 7EAA1155
	v_cvt_i32_f32_e32 v86, v86                                 // 000000007B98: 7EAC1156
	v_cvt_i32_f32_e32 v87, v87                                 // 000000007B9C: 7EAE1157
	v_rcp_f32_e32 v18, v48                                     // 000000007BA0: 7E244530
	v_perm_b32 v80, v81, v80, s53                              // 000000007BA4: D1ED0050 00D6A151
	v_perm_b32 v80, v82, v80, s54                              // 000000007BAC: D1ED0050 00DAA152
	v_perm_b32 v80, v83, v80, s55                              // 000000007BB4: D1ED0050 00DEA153
	v_perm_b32 v81, v85, v84, s53                              // 000000007BBC: D1ED0051 00D6A955
	v_perm_b32 v81, v86, v81, s54                              // 000000007BC4: D1ED0051 00DAA356
	v_perm_b32 v81, v87, v81, s55                              // 000000007BCC: D1ED0051 00DEA357
	ds_write_b32 v10, v80 offset:25088                         // 000000007BD4: D81A6200 0000500A
	ds_write_b32 v10, v81 offset:26112                         // 000000007BDC: D81A6600 0000510A
	s_waitcnt lgkmcnt(0)                                       // 000000007BE4: BF8CC07F
	s_barrier                                                  // 000000007BE8: BF8A0000
	ds_read_b64 v[80:81], v9 offset:25088                      // 000000007BEC: D8EC6200 50000009
	ds_read_b64 v[82:83], v9 offset:25216                      // 000000007BF4: D8EC6280 52000009
	ds_read_b64 v[84:85], v9 offset:26112                      // 000000007BFC: D8EC6600 54000009
	ds_read_b64 v[86:87], v9 offset:26240                      // 000000007C04: D8EC6680 56000009
	v_mov_b32_e32 v208, 0                                      // 000000007C0C: 7FA00280
	v_mov_b32_e32 v209, 0                                      // 000000007C10: 7FA20280
	v_mov_b32_e32 v210, 0                                      // 000000007C14: 7FA40280
	v_mov_b32_e32 v211, 0                                      // 000000007C18: 7FA60280
	v_mov_b32_e32 v212, 0                                      // 000000007C1C: 7FA80280
	v_mov_b32_e32 v213, 0                                      // 000000007C20: 7FAA0280
	v_mov_b32_e32 v214, 0                                      // 000000007C24: 7FAC0280
	v_mov_b32_e32 v215, 0                                      // 000000007C28: 7FAE0280
	v_mov_b32_e32 v176, 0                                      // 000000007C2C: 7F600280
	v_mov_b32_e32 v177, 0                                      // 000000007C30: 7F620280
	v_mov_b32_e32 v178, 0                                      // 000000007C34: 7F640280
	v_mov_b32_e32 v179, 0                                      // 000000007C38: 7F660280
	v_mov_b32_e32 v180, 0                                      // 000000007C3C: 7F680280
	v_mov_b32_e32 v181, 0                                      // 000000007C40: 7F6A0280
	v_mov_b32_e32 v182, 0                                      // 000000007C44: 7F6C0280
	v_mov_b32_e32 v183, 0                                      // 000000007C48: 7F6E0280
	ds_read_b64 v[88:89], v4 offset:4224                       // 000000007C4C: D8EC1080 58000004
	ds_read_b64 v[92:93], v4 offset:4352                       // 000000007C54: D8EC1100 5C000004
	s_waitcnt lgkmcnt(0)                                       // 000000007C5C: BF8CC07F
	v_and_b32_e32 v91, 0xffff0000, v89                         // 000000007C60: 26B6B2FF FFFF0000
	v_lshlrev_b32_e32 v90, 16, v89                             // 000000007C68: 24B4B290
	v_and_b32_e32 v89, 0xffff0000, v88                         // 000000007C6C: 26B2B0FF FFFF0000
	v_lshlrev_b32_e32 v88, 16, v88                             // 000000007C74: 24B0B090
	v_and_b32_e32 v95, 0xffff0000, v93                         // 000000007C78: 26BEBAFF FFFF0000
	v_lshlrev_b32_e32 v94, 16, v93                             // 000000007C80: 24BCBA90
	v_and_b32_e32 v93, 0xffff0000, v92                         // 000000007C84: 26BAB8FF FFFF0000
	v_lshlrev_b32_e32 v92, 16, v92                             // 000000007C8C: 24B8B890
	v_mov_b32_e32 v48, 0x358637bd                              // 000000007C90: 7E6002FF 358637BD
	v_max3_f32 v48, |v88|, |v89|, v48                          // 000000007C98: D1D30330 04C2B358
	v_max3_f32 v48, |v90|, |v91|, v48                          // 000000007CA0: D1D30330 04C2B75A
	v_max3_f32 v48, |v92|, |v93|, v48                          // 000000007CA8: D1D30330 04C2BB5C
	v_max3_f32 v48, |v94|, |v95|, v48                          // 000000007CB0: D1D30330 04C2BF5E
	ds_write_b32 v8, v48 offset:16896                          // 000000007CB8: D81A4200 00003008
	s_waitcnt lgkmcnt(0)                                       // 000000007CC0: BF8CC07F
	s_barrier                                                  // 000000007CC4: BF8A0000
	ds_read_b32 v64, v7 offset:16896                           // 000000007CC8: D86C4200 40000007
	ds_read_b32 v65, v7 offset:16960                           // 000000007CD0: D86C4240 41000007
	ds_read_b32 v66, v7 offset:17024                           // 000000007CD8: D86C4280 42000007
	ds_read_b32 v67, v7 offset:17088                           // 000000007CE0: D86C42C0 43000007
	ds_read_b32 v68, v7 offset:17152                           // 000000007CE8: D86C4300 44000007
	ds_read_b32 v69, v7 offset:17216                           // 000000007CF0: D86C4340 45000007
	ds_read_b32 v70, v7 offset:17280                           // 000000007CF8: D86C4380 46000007
	ds_read_b32 v71, v7 offset:17344                           // 000000007D00: D86C43C0 47000007
	ds_read_b32 v72, v7 offset:17408                           // 000000007D08: D86C4400 48000007
	ds_read_b32 v73, v7 offset:17472                           // 000000007D10: D86C4440 49000007
	ds_read_b32 v74, v7 offset:17536                           // 000000007D18: D86C4480 4A000007
	ds_read_b32 v75, v7 offset:17600                           // 000000007D20: D86C44C0 4B000007
	ds_read_b32 v76, v7 offset:17664                           // 000000007D28: D86C4500 4C000007
	ds_read_b32 v77, v7 offset:17728                           // 000000007D30: D86C4540 4D000007
	ds_read_b32 v78, v7 offset:17792                           // 000000007D38: D86C4580 4E000007
	ds_read_b32 v79, v7 offset:17856                           // 000000007D40: D86C45C0 4F000007
	s_waitcnt lgkmcnt(0)                                       // 000000007D48: BF8CC07F
	v_max3_f32 v48, |v64|, |v65|, v48                          // 000000007D4C: D1D30330 04C28340
	v_max3_f32 v48, |v66|, |v67|, v48                          // 000000007D54: D1D30330 04C28742
	v_max3_f32 v48, |v68|, |v69|, v48                          // 000000007D5C: D1D30330 04C28B44
	v_max3_f32 v48, |v70|, |v71|, v48                          // 000000007D64: D1D30330 04C28F46
	v_max3_f32 v48, |v72|, |v73|, v48                          // 000000007D6C: D1D30330 04C29348
	v_max3_f32 v48, |v74|, |v75|, v48                          // 000000007D74: D1D30330 04C2974A
	v_max3_f32 v48, |v76|, |v77|, v48                          // 000000007D7C: D1D30330 04C29B4C
	v_max3_f32 v48, |v78|, |v79|, v48                          // 000000007D84: D1D30330 04C29F4E
	v_rcp_f32_e32 v48, v48                                     // 000000007D8C: 7E604530
	s_nop 1                                                    // 000000007D90: BF800001
	v_mul_f32_e32 v48, 0x42fe0000, v48                         // 000000007D94: 0A6060FF 42FE0000
	v_mul_f32_e32 v88, v48, v88                                // 000000007D9C: 0AB0B130
	v_mul_f32_e32 v89, v48, v89                                // 000000007DA0: 0AB2B330
	v_mul_f32_e32 v90, v48, v90                                // 000000007DA4: 0AB4B530
	v_mul_f32_e32 v91, v48, v91                                // 000000007DA8: 0AB6B730
	v_mul_f32_e32 v92, v48, v92                                // 000000007DAC: 0AB8B930
	v_mul_f32_e32 v93, v48, v93                                // 000000007DB0: 0ABABB30
	v_mul_f32_e32 v94, v48, v94                                // 000000007DB4: 0ABCBD30
	v_mul_f32_e32 v95, v48, v95                                // 000000007DB8: 0ABEBF30
	v_cvt_i32_f32_e32 v88, v88                                 // 000000007DBC: 7EB01158
	v_cvt_i32_f32_e32 v89, v89                                 // 000000007DC0: 7EB21159
	v_cvt_i32_f32_e32 v90, v90                                 // 000000007DC4: 7EB4115A
	v_cvt_i32_f32_e32 v91, v91                                 // 000000007DC8: 7EB6115B
	v_cvt_i32_f32_e32 v92, v92                                 // 000000007DCC: 7EB8115C
	v_cvt_i32_f32_e32 v93, v93                                 // 000000007DD0: 7EBA115D
	v_cvt_i32_f32_e32 v94, v94                                 // 000000007DD4: 7EBC115E
	v_cvt_i32_f32_e32 v95, v95                                 // 000000007DD8: 7EBE115F
	v_rcp_f32_e32 v19, v48                                     // 000000007DDC: 7E264530
	v_perm_b32 v88, v89, v88, s53                              // 000000007DE0: D1ED0058 00D6B159
	v_perm_b32 v88, v90, v88, s54                              // 000000007DE8: D1ED0058 00DAB15A
	v_perm_b32 v88, v91, v88, s55                              // 000000007DF0: D1ED0058 00DEB15B
	v_perm_b32 v89, v93, v92, s53                              // 000000007DF8: D1ED0059 00D6B95D
	v_perm_b32 v89, v94, v89, s54                              // 000000007E00: D1ED0059 00DAB35E
	v_perm_b32 v89, v95, v89, s55                              // 000000007E08: D1ED0059 00DEB35F
	ds_write_b32 v10, v88 offset:25088                         // 000000007E10: D81A6200 0000580A
	ds_write_b32 v10, v89 offset:26112                         // 000000007E18: D81A6600 0000590A
	s_waitcnt lgkmcnt(0)                                       // 000000007E20: BF8CC07F
	s_barrier                                                  // 000000007E24: BF8A0000
	ds_read_b64 v[88:89], v9 offset:25088                      // 000000007E28: D8EC6200 58000009
	ds_read_b64 v[90:91], v9 offset:25216                      // 000000007E30: D8EC6280 5A000009
	ds_read_b64 v[92:93], v9 offset:26112                      // 000000007E38: D8EC6600 5C000009
	ds_read_b64 v[94:95], v9 offset:26240                      // 000000007E40: D8EC6680 5E000009
	v_mov_b32_e32 v216, 0                                      // 000000007E48: 7FB00280
	v_mov_b32_e32 v217, 0                                      // 000000007E4C: 7FB20280
	v_mov_b32_e32 v218, 0                                      // 000000007E50: 7FB40280
	v_mov_b32_e32 v219, 0                                      // 000000007E54: 7FB60280
	v_mov_b32_e32 v220, 0                                      // 000000007E58: 7FB80280
	v_mov_b32_e32 v221, 0                                      // 000000007E5C: 7FBA0280
	v_mov_b32_e32 v222, 0                                      // 000000007E60: 7FBC0280
	v_mov_b32_e32 v223, 0                                      // 000000007E64: 7FBE0280
	v_mov_b32_e32 v184, 0                                      // 000000007E68: 7F700280
	v_mov_b32_e32 v185, 0                                      // 000000007E6C: 7F720280
	v_mov_b32_e32 v186, 0                                      // 000000007E70: 7F740280
	v_mov_b32_e32 v187, 0                                      // 000000007E74: 7F760280
	v_mov_b32_e32 v188, 0                                      // 000000007E78: 7F780280
	v_mov_b32_e32 v189, 0                                      // 000000007E7C: 7F7A0280
	v_mov_b32_e32 v190, 0                                      // 000000007E80: 7F7C0280
	v_mov_b32_e32 v191, 0                                      // 000000007E84: 7F7E0280
	s_waitcnt vmcnt(8) lgkmcnt(0)                              // 000000007E88: BF8C0078
	s_barrier                                                  // 000000007E8C: BF8A0000
	s_cmp_lt_u32 s73, 16                                       // 000000007E90: BF0A9049
	s_cbranch_scc1 label_2D41                                  // 000000007E94: BF85161B
	s_cmp_lt_i32 s7, 2                                         // 000000007E98: BF048207
	s_cbranch_scc0 label_2236                                  // 000000007E9C: BF840B0E

0000000000007ea0 <label_1728>:
	s_waitcnt vmcnt(8) lgkmcnt(0)                              // 000000007EA0: BF8C0078
	v_mul_u32_u24_dpp v64, v17, v54 row_newbcast:0 row_mask:0xf bank_mask:0xf// 000000007EA4: 10806CFA FF015011
	v_mul_u32_u24_dpp v65, v17, v54 row_newbcast:4 row_mask:0xf bank_mask:0xf// 000000007EAC: 10826CFA FF015411
	v_mul_u32_u24_dpp v66, v17, v54 row_newbcast:8 row_mask:0xf bank_mask:0xf// 000000007EB4: 10846CFA FF015811
	v_mul_u32_u24_dpp v67, v17, v54 row_newbcast:12 row_mask:0xf bank_mask:0xf// 000000007EBC: 10866CFA FF015C11
	v_add_u32_e32 v26, v64, v5                                 // 000000007EC4: 68340B40
	v_add_u32_e32 v27, v65, v5                                 // 000000007EC8: 68360B41
	v_add_u32_e32 v28, v66, v5                                 // 000000007ECC: 68380B42
	v_add_u32_e32 v29, v67, v5                                 // 000000007ED0: 683A0B43
	v_mul_u32_u24_dpp v64, v17, v63 quad_perm:[0,0,0,0] row_mask:0xf bank_mask:0xf// 000000007ED4: 10807EFA FF000011
	v_add_u32_e32 v3, v64, v59                                 // 000000007EDC: 68067740
	v_mul_u32_u24_dpp v64, v17, v63 quad_perm:[0,0,0,0] row_mask:0xf bank_mask:0xf// 000000007EE0: 10807EFA FF000011
	v_add_u32_e32 v56, v64, v60                                // 000000007EE8: 68707940
	v_mfma_i32_16x16x32_i8 v[112:115], a[0:1], v[80:81], 0     // 000000007EEC: D3D70070 0A02A100
	v_mfma_i32_16x16x32_i8 v[112:115], a[2:3], v[82:83], v[112:115]// 000000007EF4: D3D70070 0DC2A502
	buffer_load_dwordx4 a[32:35], v26, s[16:19], 0 offen       // 000000007EFC: E05C1000 8084201A
	v_mfma_i32_16x16x32_i8 v[112:115], a[4:5], v[84:85], v[112:115]// 000000007F04: D3D70070 0DC2A904
	v_mfma_i32_16x16x32_i8 v[112:115], a[6:7], v[86:87], v[112:115]// 000000007F0C: D3D70070 0DC2AD06
	buffer_load_dword v16, v1, s[24:27], 0 offen               // 000000007F14: E0501000 80061001
	v_mfma_i32_16x16x32_i8 v[116:119], a[8:9], v[80:81], 0     // 000000007F1C: D3D70074 0A02A108
	v_mfma_i32_16x16x32_i8 v[116:119], a[10:11], v[82:83], v[116:119]// 000000007F24: D3D70074 0DD2A50A
	buffer_load_dwordx4 a[36:39], v26, s[16:19], 0 offen offset:1024// 000000007F2C: E05C1400 8084241A
	v_mfma_i32_16x16x32_i8 v[116:119], a[12:13], v[84:85], v[116:119]// 000000007F34: D3D70074 0DD2A90C
	v_mfma_i32_16x16x32_i8 v[116:119], a[14:15], v[86:87], v[116:119]// 000000007F3C: D3D70074 0DD2AD0E
	v_mfma_i32_16x16x32_i8 v[120:123], a[16:17], v[80:81], 0   // 000000007F44: D3D70078 0A02A110
	v_mfma_i32_16x16x32_i8 v[120:123], a[18:19], v[82:83], v[120:123]// 000000007F4C: D3D70078 0DE2A512
	buffer_load_dwordx4 a[40:43], v27, s[16:19], 0 offen       // 000000007F54: E05C1000 8084281B
	v_mfma_i32_16x16x32_i8 v[120:123], a[20:21], v[84:85], v[120:123]// 000000007F5C: D3D70078 0DE2A914
	v_mfma_i32_16x16x32_i8 v[120:123], a[22:23], v[86:87], v[120:123]// 000000007F64: D3D70078 0DE2AD16
	v_mfma_i32_16x16x32_i8 v[124:127], a[24:25], v[80:81], 0   // 000000007F6C: D3D7007C 0A02A118
	v_mfma_i32_16x16x32_i8 v[124:127], a[26:27], v[82:83], v[124:127]// 000000007F74: D3D7007C 0DF2A51A
	buffer_load_dwordx4 a[44:47], v27, s[16:19], 0 offen offset:1024// 000000007F7C: E05C1400 80842C1B
	v_mfma_i32_16x16x32_i8 v[124:127], a[28:29], v[84:85], v[124:127]// 000000007F84: D3D7007C 0DF2A91C
	v_mfma_i32_16x16x32_i8 v[124:127], a[30:31], v[86:87], v[124:127]// 000000007F8C: D3D7007C 0DF2AD1E
	v_mfma_i32_16x16x32_i8 v[128:131], a[0:1], v[88:89], 0     // 000000007F94: D3D70080 0A02B100
	v_mfma_i32_16x16x32_i8 v[128:131], a[2:3], v[90:91], v[128:131]// 000000007F9C: D3D70080 0E02B502
	v_mfma_i32_16x16x32_i8 v[128:131], a[4:5], v[92:93], v[128:131]// 000000007FA4: D3D70080 0E02B904
	v_mfma_i32_16x16x32_i8 v[128:131], a[6:7], v[94:95], v[128:131]// 000000007FAC: D3D70080 0E02BD06
	v_mfma_i32_16x16x32_i8 v[132:135], a[8:9], v[88:89], 0     // 000000007FB4: D3D70084 0A02B108
	v_mfma_i32_16x16x32_i8 v[132:135], a[10:11], v[90:91], v[132:135]// 000000007FBC: D3D70084 0E12B50A
	v_mfma_i32_16x16x32_i8 v[132:135], a[12:13], v[92:93], v[132:135]// 000000007FC4: D3D70084 0E12B90C
	v_mfma_i32_16x16x32_i8 v[132:135], a[14:15], v[94:95], v[132:135]// 000000007FCC: D3D70084 0E12BD0E
	v_mfma_i32_16x16x32_i8 v[136:139], a[16:17], v[88:89], 0   // 000000007FD4: D3D70088 0A02B110
	v_mfma_i32_16x16x32_i8 v[136:139], a[18:19], v[90:91], v[136:139]// 000000007FDC: D3D70088 0E22B512
	v_mfma_i32_16x16x32_i8 v[136:139], a[20:21], v[92:93], v[136:139]// 000000007FE4: D3D70088 0E22B914
	v_mfma_i32_16x16x32_i8 v[136:139], a[22:23], v[94:95], v[136:139]// 000000007FEC: D3D70088 0E22BD16
	v_mfma_i32_16x16x32_i8 v[140:143], a[24:25], v[88:89], 0   // 000000007FF4: D3D7008C 0A02B118
	v_mfma_i32_16x16x32_i8 v[140:143], a[26:27], v[90:91], v[140:143]// 000000007FFC: D3D7008C 0E32B51A
	v_mfma_i32_16x16x32_i8 v[140:143], a[28:29], v[92:93], v[140:143]// 000000008004: D3D7008C 0E32B91C
	v_mfma_i32_16x16x32_i8 v[140:143], a[30:31], v[94:95], v[140:143]// 00000000800C: D3D7008C 0E32BD1E
	buffer_load_dword v43, v3, s[32:35], 0 offen               // 000000008014: E0501000 80082B03
	v_mov_b32_dpp v64, v42 row_shr:4 row_mask:0xf bank_mask:0xf// 00000000801C: 7E8002FA FF01142A
	v_mov_b32_dpp v65, v42 row_shl:4 row_mask:0xf bank_mask:0xf// 000000008024: 7E8202FA FF01042A
	v_cndmask_b32_e64 v248, v42, v64, s[44:45]                 // 00000000802C: D10000F8 00B2812A
	v_cndmask_b32_e64 v249, v65, v42, s[44:45]                 // 000000008034: D10000F9 00B25541
	v_mov_b32_dpp v64, v248 row_shr:8 row_mask:0xf bank_mask:0xf// 00000000803C: 7E8002FA FF0118F8
	v_mov_b32_dpp v65, v248 row_shl:8 row_mask:0xf bank_mask:0xf// 000000008044: 7E8202FA FF0108F8
	v_mov_b32_dpp v66, v249 row_shr:8 row_mask:0xf bank_mask:0xf// 00000000804C: 7E8402FA FF0118F9
	v_mov_b32_dpp v67, v249 row_shl:8 row_mask:0xf bank_mask:0xf// 000000008054: 7E8602FA FF0108F9
	v_mov_b32_e32 v68, v248                                    // 00000000805C: 7E8803F8
	v_mov_b32_e32 v69, v249                                    // 000000008060: 7E8A03F9
	v_cndmask_b32_e64 v248, v68, v64, s[42:43]                 // 000000008064: D10000F8 00AA8144
	v_cndmask_b32_e64 v250, v68, v65, s[78:79]                 // 00000000806C: D10000FA 013A8344
	v_cndmask_b32_e64 v249, v69, v66, s[42:43]                 // 000000008074: D10000F9 00AA8545
	v_cndmask_b32_e64 v251, v69, v67, s[78:79]                 // 00000000807C: D10000FB 013A8745
	v_mov_b32_dpp v64, v57 row_shr:4 row_mask:0xf bank_mask:0xf// 000000008084: 7E8002FA FF011439
	v_mov_b32_dpp v65, v57 row_shl:4 row_mask:0xf bank_mask:0xf// 00000000808C: 7E8202FA FF010439
	v_cndmask_b32_e64 v252, v57, v64, s[44:45]                 // 000000008094: D10000FC 00B28139
	v_cndmask_b32_e64 v253, v65, v57, s[44:45]                 // 00000000809C: D10000FD 00B27341
	v_mov_b32_dpp v64, v252 row_shr:8 row_mask:0xf bank_mask:0xf// 0000000080A4: 7E8002FA FF0118FC
	v_mov_b32_dpp v65, v252 row_shl:8 row_mask:0xf bank_mask:0xf// 0000000080AC: 7E8202FA FF0108FC
	v_mov_b32_dpp v66, v253 row_shr:8 row_mask:0xf bank_mask:0xf// 0000000080B4: 7E8402FA FF0118FD
	v_mov_b32_dpp v67, v253 row_shl:8 row_mask:0xf bank_mask:0xf// 0000000080BC: 7E8602FA FF0108FD
	v_mov_b32_e32 v68, v252                                    // 0000000080C4: 7E8803FC
	v_mov_b32_e32 v69, v253                                    // 0000000080C8: 7E8A03FD
	v_cndmask_b32_e64 v252, v68, v64, s[42:43]                 // 0000000080CC: D10000FC 00AA8144
	v_cndmask_b32_e64 v254, v68, v65, s[78:79]                 // 0000000080D4: D10000FE 013A8344
	v_cndmask_b32_e64 v253, v69, v66, s[42:43]                 // 0000000080DC: D10000FD 00AA8545
	v_cndmask_b32_e64 v255, v69, v67, s[78:79]                 // 0000000080E4: D10000FF 013A8745
	buffer_load_dword v58, v56, s[36:39], 0 offen              // 0000000080EC: E0501000 80093A38
	v_cvt_f32_i32_e32 v112, v112                               // 0000000080F4: 7EE00B70
	v_cvt_f32_i32_e32 v113, v113                               // 0000000080F8: 7EE20B71
	v_cvt_f32_i32_e32 v114, v114                               // 0000000080FC: 7EE40B72
	v_cvt_f32_i32_e32 v115, v115                               // 000000008100: 7EE60B73
	v_cvt_f32_i32_e32 v116, v116                               // 000000008104: 7EE80B74
	v_cvt_f32_i32_e32 v117, v117                               // 000000008108: 7EEA0B75
	v_cvt_f32_i32_e32 v118, v118                               // 00000000810C: 7EEC0B76
	v_cvt_f32_i32_e32 v119, v119                               // 000000008110: 7EEE0B77
	v_cvt_f32_i32_e32 v120, v120                               // 000000008114: 7EF00B78
	v_cvt_f32_i32_e32 v121, v121                               // 000000008118: 7EF20B79
	v_cvt_f32_i32_e32 v122, v122                               // 00000000811C: 7EF40B7A
	v_cvt_f32_i32_e32 v123, v123                               // 000000008120: 7EF60B7B
	v_cvt_f32_i32_e32 v124, v124                               // 000000008124: 7EF80B7C
	v_cvt_f32_i32_e32 v125, v125                               // 000000008128: 7EFA0B7D
	v_cvt_f32_i32_e32 v126, v126                               // 00000000812C: 7EFC0B7E
	v_cvt_f32_i32_e32 v127, v127                               // 000000008130: 7EFE0B7F
	v_mul_f32_e32 v112, v18, v112                              // 000000008134: 0AE0E112
	v_mul_f32_e32 v113, v18, v113                              // 000000008138: 0AE2E312
	v_mul_f32_e32 v114, v18, v114                              // 00000000813C: 0AE4E512
	v_mul_f32_e32 v115, v18, v115                              // 000000008140: 0AE6E712
	v_mul_f32_e32 v116, v18, v116                              // 000000008144: 0AE8E912
	v_mul_f32_e32 v117, v18, v117                              // 000000008148: 0AEAEB12
	v_mul_f32_e32 v118, v18, v118                              // 00000000814C: 0AECED12
	v_mul_f32_e32 v119, v18, v119                              // 000000008150: 0AEEEF12
	v_mul_f32_e32 v120, v18, v120                              // 000000008154: 0AF0F112
	v_mul_f32_e32 v121, v18, v121                              // 000000008158: 0AF2F312
	v_mul_f32_e32 v122, v18, v122                              // 00000000815C: 0AF4F512
	v_mul_f32_e32 v123, v18, v123                              // 000000008160: 0AF6F712
	v_mul_f32_e32 v124, v18, v124                              // 000000008164: 0AF8F912
	v_mul_f32_e32 v125, v18, v125                              // 000000008168: 0AFAFB12
	v_mul_f32_e32 v126, v18, v126                              // 00000000816C: 0AFCFD12
	v_mul_f32_e32 v127, v18, v127                              // 000000008170: 0AFEFF12
	buffer_load_dwordx4 a[48:51], v28, s[16:19], 0 offen       // 000000008174: E05C1000 8084301C
	v_mul_f32_dpp v112, v248, v112 quad_perm:[0,0,0,0] row_mask:0xf bank_mask:0xf// 00000000817C: 0AE0E0FA FF0000F8
	v_mul_f32_dpp v113, v248, v113 quad_perm:[1,1,1,1] row_mask:0xf bank_mask:0xf// 000000008184: 0AE2E2FA FF0055F8
	v_mul_f32_dpp v114, v248, v114 quad_perm:[2,2,2,2] row_mask:0xf bank_mask:0xf// 00000000818C: 0AE4E4FA FF00AAF8
	v_mul_f32_dpp v115, v248, v115 quad_perm:[3,3,3,3] row_mask:0xf bank_mask:0xf// 000000008194: 0AE6E6FA FF00FFF8
	v_mul_f32_dpp v116, v249, v116 quad_perm:[0,0,0,0] row_mask:0xf bank_mask:0xf// 00000000819C: 0AE8E8FA FF0000F9
	v_mul_f32_dpp v117, v249, v117 quad_perm:[1,1,1,1] row_mask:0xf bank_mask:0xf// 0000000081A4: 0AEAEAFA FF0055F9
	v_mul_f32_dpp v118, v249, v118 quad_perm:[2,2,2,2] row_mask:0xf bank_mask:0xf// 0000000081AC: 0AECECFA FF00AAF9
	v_mul_f32_dpp v119, v249, v119 quad_perm:[3,3,3,3] row_mask:0xf bank_mask:0xf// 0000000081B4: 0AEEEEFA FF00FFF9
	v_mul_f32_dpp v120, v250, v120 quad_perm:[0,0,0,0] row_mask:0xf bank_mask:0xf// 0000000081BC: 0AF0F0FA FF0000FA
	v_mul_f32_dpp v121, v250, v121 quad_perm:[1,1,1,1] row_mask:0xf bank_mask:0xf// 0000000081C4: 0AF2F2FA FF0055FA
	v_mul_f32_dpp v122, v250, v122 quad_perm:[2,2,2,2] row_mask:0xf bank_mask:0xf// 0000000081CC: 0AF4F4FA FF00AAFA
	v_mul_f32_dpp v123, v250, v123 quad_perm:[3,3,3,3] row_mask:0xf bank_mask:0xf// 0000000081D4: 0AF6F6FA FF00FFFA
	v_mul_f32_dpp v124, v251, v124 quad_perm:[0,0,0,0] row_mask:0xf bank_mask:0xf// 0000000081DC: 0AF8F8FA FF0000FB
	v_mul_f32_dpp v125, v251, v125 quad_perm:[1,1,1,1] row_mask:0xf bank_mask:0xf// 0000000081E4: 0AFAFAFA FF0055FB
	v_mul_f32_dpp v126, v251, v126 quad_perm:[2,2,2,2] row_mask:0xf bank_mask:0xf// 0000000081EC: 0AFCFCFA FF00AAFB
	v_mul_f32_dpp v127, v251, v127 quad_perm:[3,3,3,3] row_mask:0xf bank_mask:0xf// 0000000081F4: 0AFEFEFA FF00FFFB
	buffer_load_dwordx4 a[52:55], v28, s[16:19], 0 offen offset:1024// 0000000081FC: E05C1400 8084341C
	s_cmp_le_i32 s90, s89                                      // 000000008204: BF05595A
	s_cbranch_scc1 label_1874                                  // 000000008208: BF850071
	v_mov_b32_e32 v66, 0xff800000                              // 00000000820C: 7E8402FF FF800000
	s_mov_b32 s60, s90                                         // 000000008214: BEBC005A
	s_add_u32 s61, s89, 0xff                                   // 000000008218: 803DFF59 000000FF
	v_mov_b32_e32 v64, s61                                     // 000000008220: 7E80023D
	v_lshrrev_b32_e32 v240, 4, v0                              // 000000008224: 21E00084
	v_mul_i32_i24_e32 v240, 4, v240                            // 000000008228: 0DE1E084
	v_add_u32_e32 v240, s60, v240                              // 00000000822C: 69E1E03C
	s_mov_b32 s61, 0                                           // 000000008230: BEBD0080
	s_mul_i32 s60, 16, s7                                      // 000000008234: 923C0790
	v_sub_u32_e64 v240, v240, s61                              // 000000008238: D13500F0 00007BF0
	v_add_u32_e32 v240, s60, v240                              // 000000008240: 69E1E03C
	v_add_u32_e32 v241, 1, v240                                // 000000008244: 69E3E081
	v_add_u32_e32 v242, 2, v240                                // 000000008248: 69E5E082
	v_add_u32_e32 v243, 3, v240                                // 00000000824C: 69E7E083
	v_cmp_le_u32_e64 s[40:41], v240, v64                       // 000000008250: D0CB0028 000281F0
	v_add_u32_e32 v240, 64, v240                               // 000000008258: 69E1E0C0
	s_nop 0                                                    // 00000000825C: BF800000
	v_cndmask_b32_e64 v112, v66, v112, s[40:41]                // 000000008260: D1000070 00A2E142
	v_cmp_le_u32_e64 s[40:41], v241, v64                       // 000000008268: D0CB0028 000281F1
	v_add_u32_e32 v241, 64, v241                               // 000000008270: 69E3E2C0
	s_nop 0                                                    // 000000008274: BF800000
	v_cndmask_b32_e64 v113, v66, v113, s[40:41]                // 000000008278: D1000071 00A2E342
	v_cmp_le_u32_e64 s[40:41], v242, v64                       // 000000008280: D0CB0028 000281F2
	v_add_u32_e32 v242, 64, v242                               // 000000008288: 69E5E4C0
	s_nop 0                                                    // 00000000828C: BF800000
	v_cndmask_b32_e64 v114, v66, v114, s[40:41]                // 000000008290: D1000072 00A2E542
	v_cmp_le_u32_e64 s[40:41], v243, v64                       // 000000008298: D0CB0028 000281F3
	v_add_u32_e32 v243, 64, v243                               // 0000000082A0: 69E7E6C0
	s_nop 0                                                    // 0000000082A4: BF800000
	v_cndmask_b32_e64 v115, v66, v115, s[40:41]                // 0000000082A8: D1000073 00A2E742
	v_cmp_le_u32_e64 s[40:41], v240, v64                       // 0000000082B0: D0CB0028 000281F0
	v_add_u32_e32 v240, 64, v240                               // 0000000082B8: 69E1E0C0
	s_nop 0                                                    // 0000000082BC: BF800000
	v_cndmask_b32_e64 v116, v66, v116, s[40:41]                // 0000000082C0: D1000074 00A2E942
	v_cmp_le_u32_e64 s[40:41], v241, v64                       // 0000000082C8: D0CB0028 000281F1
	v_add_u32_e32 v241, 64, v241                               // 0000000082D0: 69E3E2C0
	s_nop 0                                                    // 0000000082D4: BF800000
	v_cndmask_b32_e64 v117, v66, v117, s[40:41]                // 0000000082D8: D1000075 00A2EB42
	v_cmp_le_u32_e64 s[40:41], v242, v64                       // 0000000082E0: D0CB0028 000281F2
	v_add_u32_e32 v242, 64, v242                               // 0000000082E8: 69E5E4C0
	s_nop 0                                                    // 0000000082EC: BF800000
	v_cndmask_b32_e64 v118, v66, v118, s[40:41]                // 0000000082F0: D1000076 00A2ED42
	v_cmp_le_u32_e64 s[40:41], v243, v64                       // 0000000082F8: D0CB0028 000281F3
	v_add_u32_e32 v243, 64, v243                               // 000000008300: 69E7E6C0
	s_nop 0                                                    // 000000008304: BF800000
	v_cndmask_b32_e64 v119, v66, v119, s[40:41]                // 000000008308: D1000077 00A2EF42
	v_cmp_le_u32_e64 s[40:41], v240, v64                       // 000000008310: D0CB0028 000281F0
	v_add_u32_e32 v240, 64, v240                               // 000000008318: 69E1E0C0
	s_nop 0                                                    // 00000000831C: BF800000
	v_cndmask_b32_e64 v120, v66, v120, s[40:41]                // 000000008320: D1000078 00A2F142
	v_cmp_le_u32_e64 s[40:41], v241, v64                       // 000000008328: D0CB0028 000281F1
	v_add_u32_e32 v241, 64, v241                               // 000000008330: 69E3E2C0
	s_nop 0                                                    // 000000008334: BF800000
	v_cndmask_b32_e64 v121, v66, v121, s[40:41]                // 000000008338: D1000079 00A2F342
	v_cmp_le_u32_e64 s[40:41], v242, v64                       // 000000008340: D0CB0028 000281F2
	v_add_u32_e32 v242, 64, v242                               // 000000008348: 69E5E4C0
	s_nop 0                                                    // 00000000834C: BF800000
	v_cndmask_b32_e64 v122, v66, v122, s[40:41]                // 000000008350: D100007A 00A2F542
	v_cmp_le_u32_e64 s[40:41], v243, v64                       // 000000008358: D0CB0028 000281F3
	v_add_u32_e32 v243, 64, v243                               // 000000008360: 69E7E6C0
	s_nop 0                                                    // 000000008364: BF800000
	v_cndmask_b32_e64 v123, v66, v123, s[40:41]                // 000000008368: D100007B 00A2F742
	v_cmp_le_u32_e64 s[40:41], v240, v64                       // 000000008370: D0CB0028 000281F0
	v_add_u32_e32 v240, 64, v240                               // 000000008378: 69E1E0C0
	s_nop 0                                                    // 00000000837C: BF800000
	v_cndmask_b32_e64 v124, v66, v124, s[40:41]                // 000000008380: D100007C 00A2F942
	v_cmp_le_u32_e64 s[40:41], v241, v64                       // 000000008388: D0CB0028 000281F1
	v_add_u32_e32 v241, 64, v241                               // 000000008390: 69E3E2C0
	s_nop 0                                                    // 000000008394: BF800000
	v_cndmask_b32_e64 v125, v66, v125, s[40:41]                // 000000008398: D100007D 00A2FB42
	v_cmp_le_u32_e64 s[40:41], v242, v64                       // 0000000083A0: D0CB0028 000281F2
	v_add_u32_e32 v242, 64, v242                               // 0000000083A8: 69E5E4C0
	s_nop 0                                                    // 0000000083AC: BF800000
	v_cndmask_b32_e64 v126, v66, v126, s[40:41]                // 0000000083B0: D100007E 00A2FD42
	v_cmp_le_u32_e64 s[40:41], v243, v64                       // 0000000083B8: D0CB0028 000281F3
	v_add_u32_e32 v243, 64, v243                               // 0000000083C0: 69E7E6C0
	s_nop 0                                                    // 0000000083C4: BF800000
	v_cndmask_b32_e64 v127, v66, v127, s[40:41]                // 0000000083C8: D100007F 00A2FF42

00000000000083d0 <label_1874>:
	v_mov_b32_e32 v48, v112                                    // 0000000083D0: 7E600370
	v_max3_f32 v48, v112, v113, v48                            // 0000000083D4: D1D30030 04C2E370
	v_max3_f32 v48, v114, v115, v48                            // 0000000083DC: D1D30030 04C2E772
	v_max3_f32 v48, v116, v117, v48                            // 0000000083E4: D1D30030 04C2EB74
	v_max3_f32 v48, v118, v119, v48                            // 0000000083EC: D1D30030 04C2EF76
	v_max3_f32 v48, v120, v121, v48                            // 0000000083F4: D1D30030 04C2F378
	v_max3_f32 v48, v122, v123, v48                            // 0000000083FC: D1D30030 04C2F77A
	v_max3_f32 v48, v124, v125, v48                            // 000000008404: D1D30030 04C2FB7C
	v_max3_f32 v48, v126, v127, v48                            // 00000000840C: D1D30030 04C2FF7E
	ds_write_b32 v8, v48 offset:16896                          // 000000008414: D81A4200 00003008
	buffer_load_dwordx4 a[56:59], v29, s[16:19], 0 offen       // 00000000841C: E05C1000 8084381D
	v_mul_u32_u24_dpp v64, v17, v54 row_newbcast:1 row_mask:0xf bank_mask:0xf// 000000008424: 10806CFA FF015111
	v_mul_u32_u24_dpp v65, v17, v54 row_newbcast:5 row_mask:0xf bank_mask:0xf// 00000000842C: 10826CFA FF015511
	v_mul_u32_u24_dpp v66, v17, v54 row_newbcast:9 row_mask:0xf bank_mask:0xf// 000000008434: 10846CFA FF015911
	v_mul_u32_u24_dpp v67, v17, v54 row_newbcast:13 row_mask:0xf bank_mask:0xf// 00000000843C: 10866CFA FF015D11
	v_add_u32_e32 v34, v64, v6                                 // 000000008444: 68440D40
	v_add_u32_e32 v35, v65, v6                                 // 000000008448: 68460D41
	v_add_u32_e32 v36, v66, v6                                 // 00000000844C: 68480D42
	v_add_u32_e32 v37, v67, v6                                 // 000000008450: 684A0D43
	v_mul_f32_e32 v208, v49, v208                              // 000000008454: 0BA1A131
	v_mul_f32_e32 v209, v49, v209                              // 000000008458: 0BA3A331
	v_mul_f32_e32 v210, v49, v210                              // 00000000845C: 0BA5A531
	v_mul_f32_e32 v211, v49, v211                              // 000000008460: 0BA7A731
	v_mul_f32_e32 v212, v49, v212                              // 000000008464: 0BA9A931
	v_mul_f32_e32 v213, v49, v213                              // 000000008468: 0BABAB31
	v_mul_f32_e32 v214, v49, v214                              // 00000000846C: 0BADAD31
	v_mul_f32_e32 v215, v49, v215                              // 000000008470: 0BAFAF31
	s_waitcnt lgkmcnt(0)                                       // 000000008474: BF8CC07F
	s_barrier                                                  // 000000008478: BF8A0000
	ds_read_b32 v64, v7 offset:16896                           // 00000000847C: D86C4200 40000007
	ds_read_b32 v65, v7 offset:16960                           // 000000008484: D86C4240 41000007
	ds_read_b32 v66, v7 offset:17024                           // 00000000848C: D86C4280 42000007
	ds_read_b32 v67, v7 offset:17088                           // 000000008494: D86C42C0 43000007
	ds_read_b32 v68, v7 offset:17152                           // 00000000849C: D86C4300 44000007
	ds_read_b32 v69, v7 offset:17216                           // 0000000084A4: D86C4340 45000007
	ds_read_b32 v70, v7 offset:17280                           // 0000000084AC: D86C4380 46000007
	ds_read_b32 v71, v7 offset:17344                           // 0000000084B4: D86C43C0 47000007
	ds_read_b32 v72, v7 offset:17408                           // 0000000084BC: D86C4400 48000007
	ds_read_b32 v73, v7 offset:17472                           // 0000000084C4: D86C4440 49000007
	ds_read_b32 v74, v7 offset:17536                           // 0000000084CC: D86C4480 4A000007
	ds_read_b32 v75, v7 offset:17600                           // 0000000084D4: D86C44C0 4B000007
	ds_read_b32 v76, v7 offset:17664                           // 0000000084DC: D86C4500 4C000007
	ds_read_b32 v77, v7 offset:17728                           // 0000000084E4: D86C4540 4D000007
	ds_read_b32 v78, v7 offset:17792                           // 0000000084EC: D86C4580 4E000007
	ds_read_b32 v79, v7 offset:17856                           // 0000000084F4: D86C45C0 4F000007
	buffer_load_dwordx4 a[60:63], v29, s[16:19], 0 offen offset:1024// 0000000084FC: E05C1400 80843C1D
	v_cvt_f32_i32_e32 v176, v176                               // 000000008504: 7F600BB0
	v_cvt_f32_i32_e32 v177, v177                               // 000000008508: 7F620BB1
	v_cvt_f32_i32_e32 v178, v178                               // 00000000850C: 7F640BB2
	v_cvt_f32_i32_e32 v179, v179                               // 000000008510: 7F660BB3
	v_cvt_f32_i32_e32 v180, v180                               // 000000008514: 7F680BB4
	v_cvt_f32_i32_e32 v181, v181                               // 000000008518: 7F6A0BB5
	v_cvt_f32_i32_e32 v182, v182                               // 00000000851C: 7F6C0BB6
	v_cvt_f32_i32_e32 v183, v183                               // 000000008520: 7F6E0BB7
	v_mul_f32_e32 v176, v44, v176                              // 000000008524: 0B61612C
	v_mul_f32_e32 v177, v44, v177                              // 000000008528: 0B63632C
	v_mul_f32_e32 v178, v44, v178                              // 00000000852C: 0B65652C
	v_mul_f32_e32 v179, v44, v179                              // 000000008530: 0B67672C
	v_mul_f32_e32 v180, v44, v180                              // 000000008534: 0B69692C
	v_mul_f32_e32 v181, v44, v181                              // 000000008538: 0B6B6B2C
	v_mul_f32_e32 v182, v44, v182                              // 00000000853C: 0B6D6D2C
	v_mul_f32_e32 v183, v44, v183                              // 000000008540: 0B6F6F2C
	s_waitcnt lgkmcnt(0)                                       // 000000008544: BF8CC07F
	v_max3_f32 v48, v64, v65, v48                              // 000000008548: D1D30030 04C28340
	v_max3_f32 v48, v66, v67, v48                              // 000000008550: D1D30030 04C28742
	v_max3_f32 v48, v68, v69, v48                              // 000000008558: D1D30030 04C28B44
	v_max3_f32 v48, v70, v71, v48                              // 000000008560: D1D30030 04C28F46
	v_max3_f32 v48, v72, v73, v48                              // 000000008568: D1D30030 04C29348
	v_max3_f32 v48, v74, v75, v48                              // 000000008570: D1D30030 04C2974A
	v_max3_f32 v48, v76, v77, v48                              // 000000008578: D1D30030 04C29B4C
	v_max3_f32 v48, v78, v79, v48                              // 000000008580: D1D30030 04C29F4E
	buffer_load_dwordx4 a[96:99], v34, s[20:23], 0 offen       // 000000008588: E05C1000 80856022
	v_mov_b32_e32 v64, 0xff800000                              // 000000008590: 7E8002FF FF800000
	v_cmp_eq_u32_e64 s[40:41], v64, v11                        // 000000008598: D0CA0028 00021740
	s_nop 1                                                    // 0000000085A0: BF800001
	v_max_f32_e32 v15, v48, v11                                // 0000000085A4: 161E1730
	v_mul_f32_e32 v53, s64, v15                                // 0000000085A8: 0A6A1E40
	v_fma_f32 v112, v112, s64, -v53                            // 0000000085AC: D1CB0070 84D48170
	v_fma_f32 v113, v113, s64, -v53                            // 0000000085B4: D1CB0071 84D48171
	v_fma_f32 v114, v114, s64, -v53                            // 0000000085BC: D1CB0072 84D48172
	v_fma_f32 v115, v115, s64, -v53                            // 0000000085C4: D1CB0073 84D48173
	v_fma_f32 v116, v116, s64, -v53                            // 0000000085CC: D1CB0074 84D48174
	v_fma_f32 v117, v117, s64, -v53                            // 0000000085D4: D1CB0075 84D48175
	v_fma_f32 v118, v118, s64, -v53                            // 0000000085DC: D1CB0076 84D48176
	v_fma_f32 v119, v119, s64, -v53                            // 0000000085E4: D1CB0077 84D48177
	v_fma_f32 v120, v120, s64, -v53                            // 0000000085EC: D1CB0078 84D48178
	v_fma_f32 v121, v121, s64, -v53                            // 0000000085F4: D1CB0079 84D48179
	v_fma_f32 v122, v122, s64, -v53                            // 0000000085FC: D1CB007A 84D4817A
	v_fma_f32 v123, v123, s64, -v53                            // 000000008604: D1CB007B 84D4817B
	v_fma_f32 v124, v124, s64, -v53                            // 00000000860C: D1CB007C 84D4817C
	v_fma_f32 v125, v125, s64, -v53                            // 000000008614: D1CB007D 84D4817D
	v_fma_f32 v126, v126, s64, -v53                            // 00000000861C: D1CB007E 84D4817E
	v_fma_f32 v127, v127, s64, -v53                            // 000000008624: D1CB007F 84D4817F
	buffer_load_dwordx4 a[100:103], v35, s[20:23], 0 offen     // 00000000862C: E05C1000 80856423
	v_exp_f32_e32 v112, v112                                   // 000000008634: 7EE04170
	v_exp_f32_e32 v113, v113                                   // 000000008638: 7EE24171
	v_exp_f32_e32 v114, v114                                   // 00000000863C: 7EE44172
	v_exp_f32_e32 v115, v115                                   // 000000008640: 7EE64173
	v_exp_f32_e32 v116, v116                                   // 000000008644: 7EE84174
	v_exp_f32_e32 v117, v117                                   // 000000008648: 7EEA4175
	v_exp_f32_e32 v118, v118                                   // 00000000864C: 7EEC4176
	v_exp_f32_e32 v119, v119                                   // 000000008650: 7EEE4177
	v_exp_f32_e32 v120, v120                                   // 000000008654: 7EF04178
	v_exp_f32_e32 v121, v121                                   // 000000008658: 7EF24179
	v_exp_f32_e32 v122, v122                                   // 00000000865C: 7EF4417A
	v_exp_f32_e32 v123, v123                                   // 000000008660: 7EF6417B
	v_exp_f32_e32 v124, v124                                   // 000000008664: 7EF8417C
	v_exp_f32_e32 v125, v125                                   // 000000008668: 7EFA417D
	v_exp_f32_e32 v126, v126                                   // 00000000866C: 7EFC417E
	v_exp_f32_e32 v127, v127                                   // 000000008670: 7EFE417F
	buffer_load_dwordx4 a[104:107], v36, s[20:23], 0 offen     // 000000008674: E05C1000 80856824
	v_mul_f32_dpp v240, v252, v112 quad_perm:[0,0,0,0] row_mask:0xf bank_mask:0xf// 00000000867C: 0BE0E0FA FF0000FC
	v_mul_f32_dpp v241, v252, v113 quad_perm:[1,1,1,1] row_mask:0xf bank_mask:0xf// 000000008684: 0BE2E2FA FF0055FC
	v_mul_f32_dpp v242, v252, v114 quad_perm:[2,2,2,2] row_mask:0xf bank_mask:0xf// 00000000868C: 0BE4E4FA FF00AAFC
	v_mul_f32_dpp v243, v252, v115 quad_perm:[3,3,3,3] row_mask:0xf bank_mask:0xf// 000000008694: 0BE6E6FA FF00FFFC
	v_mul_f32_dpp v244, v253, v116 quad_perm:[0,0,0,0] row_mask:0xf bank_mask:0xf// 00000000869C: 0BE8E8FA FF0000FD
	v_mul_f32_dpp v245, v253, v117 quad_perm:[1,1,1,1] row_mask:0xf bank_mask:0xf// 0000000086A4: 0BEAEAFA FF0055FD
	v_mul_f32_dpp v246, v253, v118 quad_perm:[2,2,2,2] row_mask:0xf bank_mask:0xf// 0000000086AC: 0BECECFA FF00AAFD
	v_mul_f32_dpp v247, v253, v119 quad_perm:[3,3,3,3] row_mask:0xf bank_mask:0xf// 0000000086B4: 0BEEEEFA FF00FFFD
	v_mul_f32_dpp v248, v254, v120 quad_perm:[0,0,0,0] row_mask:0xf bank_mask:0xf// 0000000086BC: 0BF0F0FA FF0000FE
	v_mul_f32_dpp v249, v254, v121 quad_perm:[1,1,1,1] row_mask:0xf bank_mask:0xf// 0000000086C4: 0BF2F2FA FF0055FE
	v_mul_f32_dpp v250, v254, v122 quad_perm:[2,2,2,2] row_mask:0xf bank_mask:0xf// 0000000086CC: 0BF4F4FA FF00AAFE
	v_mul_f32_dpp v251, v254, v123 quad_perm:[3,3,3,3] row_mask:0xf bank_mask:0xf// 0000000086D4: 0BF6F6FA FF00FFFE
	v_mul_f32_dpp v252, v255, v124 quad_perm:[0,0,0,0] row_mask:0xf bank_mask:0xf// 0000000086DC: 0BF8F8FA FF0000FF
	v_mul_f32_dpp v253, v255, v125 quad_perm:[1,1,1,1] row_mask:0xf bank_mask:0xf// 0000000086E4: 0BFAFAFA FF0055FF
	v_mul_f32_dpp v254, v255, v126 quad_perm:[2,2,2,2] row_mask:0xf bank_mask:0xf// 0000000086EC: 0BFCFCFA FF00AAFF
	v_mul_f32_dpp v255, v255, v127 quad_perm:[3,3,3,3] row_mask:0xf bank_mask:0xf// 0000000086F4: 0BFEFEFA FF00FFFF
	v_mov_b32_e32 v48, 0x358637bd                              // 0000000086FC: 7E6002FF 358637BD
	v_max3_f32 v48, |v240|, |v241|, v48                        // 000000008704: D1D30330 04C3E3F0
	v_max3_f32 v48, |v242|, |v243|, v48                        // 00000000870C: D1D30330 04C3E7F2
	v_max3_f32 v48, |v244|, |v245|, v48                        // 000000008714: D1D30330 04C3EBF4
	v_max3_f32 v48, |v246|, |v247|, v48                        // 00000000871C: D1D30330 04C3EFF6
	v_max3_f32 v48, |v248|, |v249|, v48                        // 000000008724: D1D30330 04C3F3F8
	v_max3_f32 v48, |v250|, |v251|, v48                        // 00000000872C: D1D30330 04C3F7FA
	v_max3_f32 v48, |v252|, |v253|, v48                        // 000000008734: D1D30330 04C3FBFC
	v_max3_f32 v48, |v254|, |v255|, v48                        // 00000000873C: D1D30330 04C3FFFE
	buffer_load_dwordx4 a[108:111], v37, s[20:23], 0 offen     // 000000008744: E05C1000 80856C25
	ds_write_b32 v8, v48 offset:20992                          // 00000000874C: D81A5200 00003008
	v_sub_f32_e32 v49, v11, v15                                // 000000008754: 04621F0B
	v_cndmask_b32_e64 v49, v49, 0, s[40:41]                    // 000000008758: D1000031 00A10131
	v_mov_b32_e32 v11, v15                                     // 000000008760: 7E16030F
	v_mul_f32_e32 v49, s64, v49                                // 000000008764: 0A626240
	v_exp_f32_e32 v49, v49                                     // 000000008768: 7E624131
	s_waitcnt lgkmcnt(0)                                       // 00000000876C: BF8CC07F
	s_barrier                                                  // 000000008770: BF8A0000
	ds_read_b32 v64, v7 offset:20992                           // 000000008774: D86C5200 40000007
	ds_read_b32 v65, v7 offset:21056                           // 00000000877C: D86C5240 41000007
	ds_read_b32 v66, v7 offset:21120                           // 000000008784: D86C5280 42000007
	ds_read_b32 v67, v7 offset:21184                           // 00000000878C: D86C52C0 43000007
	ds_read_b32 v68, v7 offset:21248                           // 000000008794: D86C5300 44000007
	ds_read_b32 v69, v7 offset:21312                           // 00000000879C: D86C5340 45000007
	ds_read_b32 v70, v7 offset:21376                           // 0000000087A4: D86C5380 46000007
	ds_read_b32 v71, v7 offset:21440                           // 0000000087AC: D86C53C0 47000007
	ds_read_b32 v72, v7 offset:21504                           // 0000000087B4: D86C5400 48000007
	ds_read_b32 v73, v7 offset:21568                           // 0000000087BC: D86C5440 49000007
	ds_read_b32 v74, v7 offset:21632                           // 0000000087C4: D86C5480 4A000007
	ds_read_b32 v75, v7 offset:21696                           // 0000000087CC: D86C54C0 4B000007
	ds_read_b32 v76, v7 offset:21760                           // 0000000087D4: D86C5500 4C000007
	ds_read_b32 v77, v7 offset:21824                           // 0000000087DC: D86C5540 4D000007
	ds_read_b32 v78, v7 offset:21888                           // 0000000087E4: D86C5580 4E000007
	ds_read_b32 v79, v7 offset:21952                           // 0000000087EC: D86C55C0 4F000007
	v_mul_f32_e32 v38, v49, v38                                // 0000000087F4: 0A4C4D31
	v_mov_b32_e32 v15, v112                                    // 0000000087F8: 7E1E0370
	v_add_f32_e32 v15, v113, v15                               // 0000000087FC: 021E1F71
	v_add_f32_e32 v15, v114, v15                               // 000000008800: 021E1F72
	v_add_f32_e32 v15, v115, v15                               // 000000008804: 021E1F73
	v_add_f32_e32 v15, v116, v15                               // 000000008808: 021E1F74
	v_add_f32_e32 v15, v117, v15                               // 00000000880C: 021E1F75
	v_add_f32_e32 v15, v118, v15                               // 000000008810: 021E1F76
	v_add_f32_e32 v15, v119, v15                               // 000000008814: 021E1F77
	v_add_f32_e32 v15, v120, v15                               // 000000008818: 021E1F78
	v_add_f32_e32 v15, v121, v15                               // 00000000881C: 021E1F79
	v_add_f32_e32 v15, v122, v15                               // 000000008820: 021E1F7A
	v_add_f32_e32 v15, v123, v15                               // 000000008824: 021E1F7B
	v_add_f32_e32 v15, v124, v15                               // 000000008828: 021E1F7C
	v_add_f32_e32 v15, v125, v15                               // 00000000882C: 021E1F7D
	v_add_f32_e32 v15, v126, v15                               // 000000008830: 021E1F7E
	v_add_f32_e32 v15, v127, v15                               // 000000008834: 021E1F7F
	v_add_f32_e32 v38, v15, v38                                // 000000008838: 024C4D0F
	s_waitcnt lgkmcnt(0)                                       // 00000000883C: BF8CC07F
	v_max3_f32 v48, |v64|, |v65|, v48                          // 000000008840: D1D30330 04C28340
	v_max3_f32 v48, |v66|, |v67|, v48                          // 000000008848: D1D30330 04C28742
	v_max3_f32 v48, |v68|, |v69|, v48                          // 000000008850: D1D30330 04C28B44
	v_max3_f32 v48, |v70|, |v71|, v48                          // 000000008858: D1D30330 04C28F46
	v_max3_f32 v48, |v72|, |v73|, v48                          // 000000008860: D1D30330 04C29348
	v_max3_f32 v48, |v74|, |v75|, v48                          // 000000008868: D1D30330 04C2974A
	v_max3_f32 v48, |v76|, |v77|, v48                          // 000000008870: D1D30330 04C29B4C
	v_max3_f32 v48, |v78|, |v79|, v48                          // 000000008878: D1D30330 04C29F4E
	s_nop 2                                                    // 000000008880: BF800002
	v_rcp_f32_e32 v48, v48                                     // 000000008884: 7E604530
	s_nop 1                                                    // 000000008888: BF800001
	v_mul_f32_e32 v48, 0x42fe0000, v48                         // 00000000888C: 0A6060FF 42FE0000
	v_mul_f32_e32 v112, v48, v240                              // 000000008894: 0AE1E130
	v_mul_f32_e32 v113, v48, v241                              // 000000008898: 0AE3E330
	v_mul_f32_e32 v114, v48, v242                              // 00000000889C: 0AE5E530
	v_mul_f32_e32 v115, v48, v243                              // 0000000088A0: 0AE7E730
	v_mul_f32_e32 v116, v48, v244                              // 0000000088A4: 0AE9E930
	v_mul_f32_e32 v117, v48, v245                              // 0000000088A8: 0AEBEB30
	v_mul_f32_e32 v118, v48, v246                              // 0000000088AC: 0AEDED30
	v_mul_f32_e32 v119, v48, v247                              // 0000000088B0: 0AEFEF30
	v_mul_f32_e32 v120, v48, v248                              // 0000000088B4: 0AF1F130
	v_mul_f32_e32 v121, v48, v249                              // 0000000088B8: 0AF3F330
	v_mul_f32_e32 v122, v48, v250                              // 0000000088BC: 0AF5F530
	v_mul_f32_e32 v123, v48, v251                              // 0000000088C0: 0AF7F730
	v_mul_f32_e32 v124, v48, v252                              // 0000000088C4: 0AF9F930
	v_mul_f32_e32 v125, v48, v253                              // 0000000088C8: 0AFBFB30
	v_mul_f32_e32 v126, v48, v254                              // 0000000088CC: 0AFDFD30
	v_mul_f32_e32 v127, v48, v255                              // 0000000088D0: 0AFFFF30
	v_cvt_i32_f32_e32 v112, v112                               // 0000000088D4: 7EE01170
	v_cvt_i32_f32_e32 v113, v113                               // 0000000088D8: 7EE21171
	v_cvt_i32_f32_e32 v114, v114                               // 0000000088DC: 7EE41172
	v_cvt_i32_f32_e32 v115, v115                               // 0000000088E0: 7EE61173
	v_cvt_i32_f32_e32 v116, v116                               // 0000000088E4: 7EE81174
	v_cvt_i32_f32_e32 v117, v117                               // 0000000088E8: 7EEA1175
	v_cvt_i32_f32_e32 v118, v118                               // 0000000088EC: 7EEC1176
	v_cvt_i32_f32_e32 v119, v119                               // 0000000088F0: 7EEE1177
	v_cvt_i32_f32_e32 v120, v120                               // 0000000088F4: 7EF01178
	v_cvt_i32_f32_e32 v121, v121                               // 0000000088F8: 7EF21179
	v_cvt_i32_f32_e32 v122, v122                               // 0000000088FC: 7EF4117A
	v_cvt_i32_f32_e32 v123, v123                               // 000000008900: 7EF6117B
	v_cvt_i32_f32_e32 v124, v124                               // 000000008904: 7EF8117C
	v_cvt_i32_f32_e32 v125, v125                               // 000000008908: 7EFA117D
	v_cvt_i32_f32_e32 v126, v126                               // 00000000890C: 7EFC117E
	v_cvt_i32_f32_e32 v127, v127                               // 000000008910: 7EFE117F
	v_perm_b32 v112, v113, v112, s53                           // 000000008914: D1ED0070 00D6E171
	v_perm_b32 v112, v114, v112, s54                           // 00000000891C: D1ED0070 00DAE172
	v_perm_b32 v112, v115, v112, s55                           // 000000008924: D1ED0070 00DEE173
	v_perm_b32 v113, v117, v116, s53                           // 00000000892C: D1ED0071 00D6E975
	v_perm_b32 v113, v118, v113, s54                           // 000000008934: D1ED0071 00DAE376
	v_perm_b32 v113, v119, v113, s55                           // 00000000893C: D1ED0071 00DEE377
	v_perm_b32 v114, v121, v120, s53                           // 000000008944: D1ED0072 00D6F179
	v_perm_b32 v114, v122, v114, s54                           // 00000000894C: D1ED0072 00DAE57A
	v_perm_b32 v114, v123, v114, s55                           // 000000008954: D1ED0072 00DEE57B
	v_perm_b32 v115, v125, v124, s53                           // 00000000895C: D1ED0073 00D6F97D
	v_perm_b32 v115, v126, v115, s54                           // 000000008964: D1ED0073 00DAE77E
	v_perm_b32 v115, v127, v115, s55                           // 00000000896C: D1ED0073 00DEE77F
	ds_write_b32 v10, v112 offset:25088                        // 000000008974: D81A6200 0000700A
	ds_write_b32 v10, v113 offset:26112                        // 00000000897C: D81A6600 0000710A
	ds_write_b32 v10, v114 offset:27136                        // 000000008984: D81A6A00 0000720A
	ds_write_b32 v10, v115 offset:28160                        // 00000000898C: D81A6E00 0000730A
	v_add_f32_e32 v208, v208, v176                             // 000000008994: 03A161D0
	v_add_f32_e32 v209, v209, v177                             // 000000008998: 03A363D1
	v_add_f32_e32 v210, v210, v178                             // 00000000899C: 03A565D2
	v_add_f32_e32 v211, v211, v179                             // 0000000089A0: 03A767D3
	v_add_f32_e32 v212, v212, v180                             // 0000000089A4: 03A969D4
	v_add_f32_e32 v213, v213, v181                             // 0000000089A8: 03AB6BD5
	v_add_f32_e32 v214, v214, v182                             // 0000000089AC: 03AD6DD6
	v_add_f32_e32 v215, v215, v183                             // 0000000089B0: 03AF6FD7
	v_rcp_f32_e32 v44, v48                                     // 0000000089B4: 7E584530
	s_waitcnt lgkmcnt(0)                                       // 0000000089B8: BF8CC07F
	s_barrier                                                  // 0000000089BC: BF8A0000
	ds_read_b64 v[112:113], v9 offset:25088                    // 0000000089C0: D8EC6200 70000009
	ds_read_b64 v[114:115], v9 offset:25216                    // 0000000089C8: D8EC6280 72000009
	ds_read_b64 v[116:117], v9 offset:26112                    // 0000000089D0: D8EC6600 74000009
	ds_read_b64 v[118:119], v9 offset:26240                    // 0000000089D8: D8EC6680 76000009
	ds_read_b64 v[120:121], v9 offset:27136                    // 0000000089E0: D8EC6A00 78000009
	ds_read_b64 v[122:123], v9 offset:27264                    // 0000000089E8: D8EC6A80 7A000009
	ds_read_b64 v[124:125], v9 offset:28160                    // 0000000089F0: D8EC6E00 7C000009
	ds_read_b64 v[126:127], v9 offset:28288                    // 0000000089F8: D8EC6E80 7E000009
	v_mov_b32_dpp v64, v42 row_shr:4 row_mask:0xf bank_mask:0xf// 000000008A00: 7E8002FA FF01142A
	v_mov_b32_dpp v65, v42 row_shl:4 row_mask:0xf bank_mask:0xf// 000000008A08: 7E8202FA FF01042A
	v_cndmask_b32_e64 v248, v42, v64, s[44:45]                 // 000000008A10: D10000F8 00B2812A
	v_cndmask_b32_e64 v249, v65, v42, s[44:45]                 // 000000008A18: D10000F9 00B25541
	v_mov_b32_dpp v64, v248 row_shr:8 row_mask:0xf bank_mask:0xf// 000000008A20: 7E8002FA FF0118F8
	v_mov_b32_dpp v65, v248 row_shl:8 row_mask:0xf bank_mask:0xf// 000000008A28: 7E8202FA FF0108F8
	v_mov_b32_dpp v66, v249 row_shr:8 row_mask:0xf bank_mask:0xf// 000000008A30: 7E8402FA FF0118F9
	v_mov_b32_dpp v67, v249 row_shl:8 row_mask:0xf bank_mask:0xf// 000000008A38: 7E8602FA FF0108F9
	v_mov_b32_e32 v68, v248                                    // 000000008A40: 7E8803F8
	v_mov_b32_e32 v69, v249                                    // 000000008A44: 7E8A03F9
	v_cndmask_b32_e64 v248, v68, v64, s[42:43]                 // 000000008A48: D10000F8 00AA8144
	v_cndmask_b32_e64 v250, v68, v65, s[78:79]                 // 000000008A50: D10000FA 013A8344
	v_cndmask_b32_e64 v249, v69, v66, s[42:43]                 // 000000008A58: D10000F9 00AA8545
	v_cndmask_b32_e64 v251, v69, v67, s[78:79]                 // 000000008A60: D10000FB 013A8745
	v_mov_b32_dpp v64, v57 row_shr:4 row_mask:0xf bank_mask:0xf// 000000008A68: 7E8002FA FF011439
	v_mov_b32_dpp v65, v57 row_shl:4 row_mask:0xf bank_mask:0xf// 000000008A70: 7E8202FA FF010439
	v_cndmask_b32_e64 v252, v57, v64, s[44:45]                 // 000000008A78: D10000FC 00B28139
	v_cndmask_b32_e64 v253, v65, v57, s[44:45]                 // 000000008A80: D10000FD 00B27341
	v_mov_b32_dpp v64, v252 row_shr:8 row_mask:0xf bank_mask:0xf// 000000008A88: 7E8002FA FF0118FC
	v_mov_b32_dpp v65, v252 row_shl:8 row_mask:0xf bank_mask:0xf// 000000008A90: 7E8202FA FF0108FC
	v_mov_b32_dpp v66, v253 row_shr:8 row_mask:0xf bank_mask:0xf// 000000008A98: 7E8402FA FF0118FD
	v_mov_b32_dpp v67, v253 row_shl:8 row_mask:0xf bank_mask:0xf// 000000008AA0: 7E8602FA FF0108FD
	v_mov_b32_e32 v68, v252                                    // 000000008AA8: 7E8803FC
	v_mov_b32_e32 v69, v253                                    // 000000008AAC: 7E8A03FD
	v_cndmask_b32_e64 v252, v68, v64, s[42:43]                 // 000000008AB0: D10000FC 00AA8144
	v_cndmask_b32_e64 v254, v68, v65, s[78:79]                 // 000000008AB8: D10000FE 013A8344
	v_cndmask_b32_e64 v253, v69, v66, s[42:43]                 // 000000008AC0: D10000FD 00AA8545
	v_cndmask_b32_e64 v255, v69, v67, s[78:79]                 // 000000008AC8: D10000FF 013A8745
	v_cvt_f32_i32_e32 v128, v128                               // 000000008AD0: 7F000B80
	v_cvt_f32_i32_e32 v129, v129                               // 000000008AD4: 7F020B81
	v_cvt_f32_i32_e32 v130, v130                               // 000000008AD8: 7F040B82
	v_cvt_f32_i32_e32 v131, v131                               // 000000008ADC: 7F060B83
	v_cvt_f32_i32_e32 v132, v132                               // 000000008AE0: 7F080B84
	v_cvt_f32_i32_e32 v133, v133                               // 000000008AE4: 7F0A0B85
	v_cvt_f32_i32_e32 v134, v134                               // 000000008AE8: 7F0C0B86
	v_cvt_f32_i32_e32 v135, v135                               // 000000008AEC: 7F0E0B87
	v_cvt_f32_i32_e32 v136, v136                               // 000000008AF0: 7F100B88
	v_cvt_f32_i32_e32 v137, v137                               // 000000008AF4: 7F120B89
	v_cvt_f32_i32_e32 v138, v138                               // 000000008AF8: 7F140B8A
	v_cvt_f32_i32_e32 v139, v139                               // 000000008AFC: 7F160B8B
	v_cvt_f32_i32_e32 v140, v140                               // 000000008B00: 7F180B8C
	v_cvt_f32_i32_e32 v141, v141                               // 000000008B04: 7F1A0B8D
	v_cvt_f32_i32_e32 v142, v142                               // 000000008B08: 7F1C0B8E
	v_cvt_f32_i32_e32 v143, v143                               // 000000008B0C: 7F1E0B8F
	v_mul_f32_e32 v128, v19, v128                              // 000000008B10: 0B010113
	v_mul_f32_e32 v129, v19, v129                              // 000000008B14: 0B030313
	v_mul_f32_e32 v130, v19, v130                              // 000000008B18: 0B050513
	v_mul_f32_e32 v131, v19, v131                              // 000000008B1C: 0B070713
	v_mul_f32_e32 v132, v19, v132                              // 000000008B20: 0B090913
	v_mul_f32_e32 v133, v19, v133                              // 000000008B24: 0B0B0B13
	v_mul_f32_e32 v134, v19, v134                              // 000000008B28: 0B0D0D13
	v_mul_f32_e32 v135, v19, v135                              // 000000008B2C: 0B0F0F13
	v_mul_f32_e32 v136, v19, v136                              // 000000008B30: 0B111113
	v_mul_f32_e32 v137, v19, v137                              // 000000008B34: 0B131313
	v_mul_f32_e32 v138, v19, v138                              // 000000008B38: 0B151513
	v_mul_f32_e32 v139, v19, v139                              // 000000008B3C: 0B171713
	v_mul_f32_e32 v140, v19, v140                              // 000000008B40: 0B191913
	v_mul_f32_e32 v141, v19, v141                              // 000000008B44: 0B1B1B13
	v_mul_f32_e32 v142, v19, v142                              // 000000008B48: 0B1D1D13
	v_mul_f32_e32 v143, v19, v143                              // 000000008B4C: 0B1F1F13
	v_mul_f32_dpp v128, v248, v128 quad_perm:[0,0,0,0] row_mask:0xf bank_mask:0xf// 000000008B50: 0B0100FA FF0000F8
	v_mul_f32_dpp v129, v248, v129 quad_perm:[1,1,1,1] row_mask:0xf bank_mask:0xf// 000000008B58: 0B0302FA FF0055F8
	v_mul_f32_dpp v130, v248, v130 quad_perm:[2,2,2,2] row_mask:0xf bank_mask:0xf// 000000008B60: 0B0504FA FF00AAF8
	v_mul_f32_dpp v131, v248, v131 quad_perm:[3,3,3,3] row_mask:0xf bank_mask:0xf// 000000008B68: 0B0706FA FF00FFF8
	v_mul_f32_dpp v132, v249, v132 quad_perm:[0,0,0,0] row_mask:0xf bank_mask:0xf// 000000008B70: 0B0908FA FF0000F9
	v_mul_f32_dpp v133, v249, v133 quad_perm:[1,1,1,1] row_mask:0xf bank_mask:0xf// 000000008B78: 0B0B0AFA FF0055F9
	v_mul_f32_dpp v134, v249, v134 quad_perm:[2,2,2,2] row_mask:0xf bank_mask:0xf// 000000008B80: 0B0D0CFA FF00AAF9
	v_mul_f32_dpp v135, v249, v135 quad_perm:[3,3,3,3] row_mask:0xf bank_mask:0xf// 000000008B88: 0B0F0EFA FF00FFF9
	v_mul_f32_dpp v136, v250, v136 quad_perm:[0,0,0,0] row_mask:0xf bank_mask:0xf// 000000008B90: 0B1110FA FF0000FA
	v_mul_f32_dpp v137, v250, v137 quad_perm:[1,1,1,1] row_mask:0xf bank_mask:0xf// 000000008B98: 0B1312FA FF0055FA
	v_mul_f32_dpp v138, v250, v138 quad_perm:[2,2,2,2] row_mask:0xf bank_mask:0xf// 000000008BA0: 0B1514FA FF00AAFA
	v_mul_f32_dpp v139, v250, v139 quad_perm:[3,3,3,3] row_mask:0xf bank_mask:0xf// 000000008BA8: 0B1716FA FF00FFFA
	v_mul_f32_dpp v140, v251, v140 quad_perm:[0,0,0,0] row_mask:0xf bank_mask:0xf// 000000008BB0: 0B1918FA FF0000FB
	v_mul_f32_dpp v141, v251, v141 quad_perm:[1,1,1,1] row_mask:0xf bank_mask:0xf// 000000008BB8: 0B1B1AFA FF0055FB
	v_mul_f32_dpp v142, v251, v142 quad_perm:[2,2,2,2] row_mask:0xf bank_mask:0xf// 000000008BC0: 0B1D1CFA FF00AAFB
	v_mul_f32_dpp v143, v251, v143 quad_perm:[3,3,3,3] row_mask:0xf bank_mask:0xf// 000000008BC8: 0B1F1EFA FF00FFFB
	s_cmp_le_i32 s90, s89                                      // 000000008BD0: BF05595A
	s_cbranch_scc1 label_1AE7                                  // 000000008BD4: BF850071
	v_mov_b32_e32 v66, 0xff800000                              // 000000008BD8: 7E8402FF FF800000
	s_mov_b32 s60, s90                                         // 000000008BE0: BEBC005A
	s_add_u32 s61, s89, 0xff                                   // 000000008BE4: 803DFF59 000000FF
	v_mov_b32_e32 v64, s61                                     // 000000008BEC: 7E80023D
	v_lshrrev_b32_e32 v240, 4, v0                              // 000000008BF0: 21E00084
	v_mul_i32_i24_e32 v240, 4, v240                            // 000000008BF4: 0DE1E084
	v_add_u32_e32 v240, s60, v240                              // 000000008BF8: 69E1E03C
	s_mov_b32 s61, 1                                           // 000000008BFC: BEBD0081
	s_mul_i32 s60, 16, s7                                      // 000000008C00: 923C0790
	v_sub_u32_e64 v240, v240, s61                              // 000000008C04: D13500F0 00007BF0
	v_add_u32_e32 v240, s60, v240                              // 000000008C0C: 69E1E03C
	v_add_u32_e32 v241, 1, v240                                // 000000008C10: 69E3E081
	v_add_u32_e32 v242, 2, v240                                // 000000008C14: 69E5E082
	v_add_u32_e32 v243, 3, v240                                // 000000008C18: 69E7E083
	v_cmp_le_u32_e64 s[40:41], v240, v64                       // 000000008C1C: D0CB0028 000281F0
	v_add_u32_e32 v240, 64, v240                               // 000000008C24: 69E1E0C0
	s_nop 0                                                    // 000000008C28: BF800000
	v_cndmask_b32_e64 v128, v66, v128, s[40:41]                // 000000008C2C: D1000080 00A30142
	v_cmp_le_u32_e64 s[40:41], v241, v64                       // 000000008C34: D0CB0028 000281F1
	v_add_u32_e32 v241, 64, v241                               // 000000008C3C: 69E3E2C0
	s_nop 0                                                    // 000000008C40: BF800000
	v_cndmask_b32_e64 v129, v66, v129, s[40:41]                // 000000008C44: D1000081 00A30342
	v_cmp_le_u32_e64 s[40:41], v242, v64                       // 000000008C4C: D0CB0028 000281F2
	v_add_u32_e32 v242, 64, v242                               // 000000008C54: 69E5E4C0
	s_nop 0                                                    // 000000008C58: BF800000
	v_cndmask_b32_e64 v130, v66, v130, s[40:41]                // 000000008C5C: D1000082 00A30542
	v_cmp_le_u32_e64 s[40:41], v243, v64                       // 000000008C64: D0CB0028 000281F3
	v_add_u32_e32 v243, 64, v243                               // 000000008C6C: 69E7E6C0
	s_nop 0                                                    // 000000008C70: BF800000
	v_cndmask_b32_e64 v131, v66, v131, s[40:41]                // 000000008C74: D1000083 00A30742
	v_cmp_le_u32_e64 s[40:41], v240, v64                       // 000000008C7C: D0CB0028 000281F0
	v_add_u32_e32 v240, 64, v240                               // 000000008C84: 69E1E0C0
	s_nop 0                                                    // 000000008C88: BF800000
	v_cndmask_b32_e64 v132, v66, v132, s[40:41]                // 000000008C8C: D1000084 00A30942
	v_cmp_le_u32_e64 s[40:41], v241, v64                       // 000000008C94: D0CB0028 000281F1
	v_add_u32_e32 v241, 64, v241                               // 000000008C9C: 69E3E2C0
	s_nop 0                                                    // 000000008CA0: BF800000
	v_cndmask_b32_e64 v133, v66, v133, s[40:41]                // 000000008CA4: D1000085 00A30B42
	v_cmp_le_u32_e64 s[40:41], v242, v64                       // 000000008CAC: D0CB0028 000281F2
	v_add_u32_e32 v242, 64, v242                               // 000000008CB4: 69E5E4C0
	s_nop 0                                                    // 000000008CB8: BF800000
	v_cndmask_b32_e64 v134, v66, v134, s[40:41]                // 000000008CBC: D1000086 00A30D42
	v_cmp_le_u32_e64 s[40:41], v243, v64                       // 000000008CC4: D0CB0028 000281F3
	v_add_u32_e32 v243, 64, v243                               // 000000008CCC: 69E7E6C0
	s_nop 0                                                    // 000000008CD0: BF800000
	v_cndmask_b32_e64 v135, v66, v135, s[40:41]                // 000000008CD4: D1000087 00A30F42
	v_cmp_le_u32_e64 s[40:41], v240, v64                       // 000000008CDC: D0CB0028 000281F0
	v_add_u32_e32 v240, 64, v240                               // 000000008CE4: 69E1E0C0
	s_nop 0                                                    // 000000008CE8: BF800000
	v_cndmask_b32_e64 v136, v66, v136, s[40:41]                // 000000008CEC: D1000088 00A31142
	v_cmp_le_u32_e64 s[40:41], v241, v64                       // 000000008CF4: D0CB0028 000281F1
	v_add_u32_e32 v241, 64, v241                               // 000000008CFC: 69E3E2C0
	s_nop 0                                                    // 000000008D00: BF800000
	v_cndmask_b32_e64 v137, v66, v137, s[40:41]                // 000000008D04: D1000089 00A31342
	v_cmp_le_u32_e64 s[40:41], v242, v64                       // 000000008D0C: D0CB0028 000281F2
	v_add_u32_e32 v242, 64, v242                               // 000000008D14: 69E5E4C0
	s_nop 0                                                    // 000000008D18: BF800000
	v_cndmask_b32_e64 v138, v66, v138, s[40:41]                // 000000008D1C: D100008A 00A31542
	v_cmp_le_u32_e64 s[40:41], v243, v64                       // 000000008D24: D0CB0028 000281F3
	v_add_u32_e32 v243, 64, v243                               // 000000008D2C: 69E7E6C0
	s_nop 0                                                    // 000000008D30: BF800000
	v_cndmask_b32_e64 v139, v66, v139, s[40:41]                // 000000008D34: D100008B 00A31742
	v_cmp_le_u32_e64 s[40:41], v240, v64                       // 000000008D3C: D0CB0028 000281F0
	v_add_u32_e32 v240, 64, v240                               // 000000008D44: 69E1E0C0
	s_nop 0                                                    // 000000008D48: BF800000
	v_cndmask_b32_e64 v140, v66, v140, s[40:41]                // 000000008D4C: D100008C 00A31942
	v_cmp_le_u32_e64 s[40:41], v241, v64                       // 000000008D54: D0CB0028 000281F1
	v_add_u32_e32 v241, 64, v241                               // 000000008D5C: 69E3E2C0
	s_nop 0                                                    // 000000008D60: BF800000
	v_cndmask_b32_e64 v141, v66, v141, s[40:41]                // 000000008D64: D100008D 00A31B42
	v_cmp_le_u32_e64 s[40:41], v242, v64                       // 000000008D6C: D0CB0028 000281F2
	v_add_u32_e32 v242, 64, v242                               // 000000008D74: 69E5E4C0
	s_nop 0                                                    // 000000008D78: BF800000
	v_cndmask_b32_e64 v142, v66, v142, s[40:41]                // 000000008D7C: D100008E 00A31D42
	v_cmp_le_u32_e64 s[40:41], v243, v64                       // 000000008D84: D0CB0028 000281F3
	v_add_u32_e32 v243, 64, v243                               // 000000008D8C: 69E7E6C0
	s_nop 0                                                    // 000000008D90: BF800000
	v_cndmask_b32_e64 v143, v66, v143, s[40:41]                // 000000008D94: D100008F 00A31F42

0000000000008d9c <label_1AE7>:
	s_add_u32 s90, s91, s90                                    // 000000008D9C: 805A5A5B
	v_mov_b32_e32 v48, v128                                    // 000000008DA0: 7E600380
	v_max3_f32 v48, v128, v129, v48                            // 000000008DA4: D1D30030 04C30380
	v_max3_f32 v48, v130, v131, v48                            // 000000008DAC: D1D30030 04C30782
	v_max3_f32 v48, v132, v133, v48                            // 000000008DB4: D1D30030 04C30B84
	v_max3_f32 v48, v134, v135, v48                            // 000000008DBC: D1D30030 04C30F86
	v_max3_f32 v48, v136, v137, v48                            // 000000008DC4: D1D30030 04C31388
	v_max3_f32 v48, v138, v139, v48                            // 000000008DCC: D1D30030 04C3178A
	v_max3_f32 v48, v140, v141, v48                            // 000000008DD4: D1D30030 04C31B8C
	v_max3_f32 v48, v142, v143, v48                            // 000000008DDC: D1D30030 04C31F8E
	ds_write_b32 v8, v48 offset:16896                          // 000000008DE4: D81A4200 00003008
	v_mul_f32_e32 v216, v50, v216                              // 000000008DEC: 0BB1B132
	v_mul_f32_e32 v217, v50, v217                              // 000000008DF0: 0BB3B332
	v_mul_f32_e32 v218, v50, v218                              // 000000008DF4: 0BB5B532
	v_mul_f32_e32 v219, v50, v219                              // 000000008DF8: 0BB7B732
	v_mul_f32_e32 v220, v50, v220                              // 000000008DFC: 0BB9B932
	v_mul_f32_e32 v221, v50, v221                              // 000000008E00: 0BBBBB32
	v_mul_f32_e32 v222, v50, v222                              // 000000008E04: 0BBDBD32
	v_mul_f32_e32 v223, v50, v223                              // 000000008E08: 0BBFBF32
	s_waitcnt lgkmcnt(0)                                       // 000000008E0C: BF8CC07F
	s_barrier                                                  // 000000008E10: BF8A0000
	ds_read_b32 v64, v7 offset:16896                           // 000000008E14: D86C4200 40000007
	ds_read_b32 v65, v7 offset:16960                           // 000000008E1C: D86C4240 41000007
	ds_read_b32 v66, v7 offset:17024                           // 000000008E24: D86C4280 42000007
	ds_read_b32 v67, v7 offset:17088                           // 000000008E2C: D86C42C0 43000007
	ds_read_b32 v68, v7 offset:17152                           // 000000008E34: D86C4300 44000007
	ds_read_b32 v69, v7 offset:17216                           // 000000008E3C: D86C4340 45000007
	ds_read_b32 v70, v7 offset:17280                           // 000000008E44: D86C4380 46000007
	ds_read_b32 v71, v7 offset:17344                           // 000000008E4C: D86C43C0 47000007
	ds_read_b32 v72, v7 offset:17408                           // 000000008E54: D86C4400 48000007
	ds_read_b32 v73, v7 offset:17472                           // 000000008E5C: D86C4440 49000007
	ds_read_b32 v74, v7 offset:17536                           // 000000008E64: D86C4480 4A000007
	ds_read_b32 v75, v7 offset:17600                           // 000000008E6C: D86C44C0 4B000007
	ds_read_b32 v76, v7 offset:17664                           // 000000008E74: D86C4500 4C000007
	ds_read_b32 v77, v7 offset:17728                           // 000000008E7C: D86C4540 4D000007
	ds_read_b32 v78, v7 offset:17792                           // 000000008E84: D86C4580 4E000007
	ds_read_b32 v79, v7 offset:17856                           // 000000008E8C: D86C45C0 4F000007
	v_cvt_f32_i32_e32 v184, v184                               // 000000008E94: 7F700BB8
	v_cvt_f32_i32_e32 v185, v185                               // 000000008E98: 7F720BB9
	v_cvt_f32_i32_e32 v186, v186                               // 000000008E9C: 7F740BBA
	v_cvt_f32_i32_e32 v187, v187                               // 000000008EA0: 7F760BBB
	v_cvt_f32_i32_e32 v188, v188                               // 000000008EA4: 7F780BBC
	v_cvt_f32_i32_e32 v189, v189                               // 000000008EA8: 7F7A0BBD
	v_cvt_f32_i32_e32 v190, v190                               // 000000008EAC: 7F7C0BBE
	v_cvt_f32_i32_e32 v191, v191                               // 000000008EB0: 7F7E0BBF
	v_mul_f32_e32 v184, v45, v184                              // 000000008EB4: 0B71712D
	v_mul_f32_e32 v185, v45, v185                              // 000000008EB8: 0B73732D
	v_mul_f32_e32 v186, v45, v186                              // 000000008EBC: 0B75752D
	v_mul_f32_e32 v187, v45, v187                              // 000000008EC0: 0B77772D
	v_mul_f32_e32 v188, v45, v188                              // 000000008EC4: 0B79792D
	v_mul_f32_e32 v189, v45, v189                              // 000000008EC8: 0B7B7B2D
	v_mul_f32_e32 v190, v45, v190                              // 000000008ECC: 0B7D7D2D
	v_mul_f32_e32 v191, v45, v191                              // 000000008ED0: 0B7F7F2D
	s_waitcnt lgkmcnt(0)                                       // 000000008ED4: BF8CC07F
	v_max3_f32 v48, v64, v65, v48                              // 000000008ED8: D1D30030 04C28340
	v_max3_f32 v48, v66, v67, v48                              // 000000008EE0: D1D30030 04C28742
	v_max3_f32 v48, v68, v69, v48                              // 000000008EE8: D1D30030 04C28B44
	v_max3_f32 v48, v70, v71, v48                              // 000000008EF0: D1D30030 04C28F46
	v_max3_f32 v48, v72, v73, v48                              // 000000008EF8: D1D30030 04C29348
	v_max3_f32 v48, v74, v75, v48                              // 000000008F00: D1D30030 04C2974A
	v_max3_f32 v48, v76, v77, v48                              // 000000008F08: D1D30030 04C29B4C
	v_max3_f32 v48, v78, v79, v48                              // 000000008F10: D1D30030 04C29F4E
	v_mov_b32_e32 v64, 0xff800000                              // 000000008F18: 7E8002FF FF800000
	v_cmp_eq_u32_e64 s[40:41], v64, v12                        // 000000008F20: D0CA0028 00021940
	s_nop 1                                                    // 000000008F28: BF800001
	v_max_f32_e32 v15, v48, v12                                // 000000008F2C: 161E1930
	v_mul_f32_e32 v53, s64, v15                                // 000000008F30: 0A6A1E40
	v_fma_f32 v128, v128, s64, -v53                            // 000000008F34: D1CB0080 84D48180
	v_fma_f32 v129, v129, s64, -v53                            // 000000008F3C: D1CB0081 84D48181
	v_fma_f32 v130, v130, s64, -v53                            // 000000008F44: D1CB0082 84D48182
	v_fma_f32 v131, v131, s64, -v53                            // 000000008F4C: D1CB0083 84D48183
	v_fma_f32 v132, v132, s64, -v53                            // 000000008F54: D1CB0084 84D48184
	v_fma_f32 v133, v133, s64, -v53                            // 000000008F5C: D1CB0085 84D48185
	v_fma_f32 v134, v134, s64, -v53                            // 000000008F64: D1CB0086 84D48186
	v_fma_f32 v135, v135, s64, -v53                            // 000000008F6C: D1CB0087 84D48187
	v_fma_f32 v136, v136, s64, -v53                            // 000000008F74: D1CB0088 84D48188
	v_fma_f32 v137, v137, s64, -v53                            // 000000008F7C: D1CB0089 84D48189
	v_fma_f32 v138, v138, s64, -v53                            // 000000008F84: D1CB008A 84D4818A
	v_fma_f32 v139, v139, s64, -v53                            // 000000008F8C: D1CB008B 84D4818B
	v_fma_f32 v140, v140, s64, -v53                            // 000000008F94: D1CB008C 84D4818C
	v_fma_f32 v141, v141, s64, -v53                            // 000000008F9C: D1CB008D 84D4818D
	v_fma_f32 v142, v142, s64, -v53                            // 000000008FA4: D1CB008E 84D4818E
	v_fma_f32 v143, v143, s64, -v53                            // 000000008FAC: D1CB008F 84D4818F
	v_exp_f32_e32 v128, v128                                   // 000000008FB4: 7F004180
	v_exp_f32_e32 v129, v129                                   // 000000008FB8: 7F024181
	v_exp_f32_e32 v130, v130                                   // 000000008FBC: 7F044182
	v_exp_f32_e32 v131, v131                                   // 000000008FC0: 7F064183
	v_exp_f32_e32 v132, v132                                   // 000000008FC4: 7F084184
	v_exp_f32_e32 v133, v133                                   // 000000008FC8: 7F0A4185
	v_exp_f32_e32 v134, v134                                   // 000000008FCC: 7F0C4186
	v_exp_f32_e32 v135, v135                                   // 000000008FD0: 7F0E4187
	v_exp_f32_e32 v136, v136                                   // 000000008FD4: 7F104188
	v_exp_f32_e32 v137, v137                                   // 000000008FD8: 7F124189
	v_exp_f32_e32 v138, v138                                   // 000000008FDC: 7F14418A
	v_exp_f32_e32 v139, v139                                   // 000000008FE0: 7F16418B
	v_exp_f32_e32 v140, v140                                   // 000000008FE4: 7F18418C
	v_exp_f32_e32 v141, v141                                   // 000000008FE8: 7F1A418D
	v_exp_f32_e32 v142, v142                                   // 000000008FEC: 7F1C418E
	v_exp_f32_e32 v143, v143                                   // 000000008FF0: 7F1E418F
	v_mul_f32_dpp v240, v252, v128 quad_perm:[0,0,0,0] row_mask:0xf bank_mask:0xf// 000000008FF4: 0BE100FA FF0000FC
	v_mul_f32_dpp v241, v252, v129 quad_perm:[1,1,1,1] row_mask:0xf bank_mask:0xf// 000000008FFC: 0BE302FA FF0055FC
	v_mul_f32_dpp v242, v252, v130 quad_perm:[2,2,2,2] row_mask:0xf bank_mask:0xf// 000000009004: 0BE504FA FF00AAFC
	v_mul_f32_dpp v243, v252, v131 quad_perm:[3,3,3,3] row_mask:0xf bank_mask:0xf// 00000000900C: 0BE706FA FF00FFFC
	v_mul_f32_dpp v244, v253, v132 quad_perm:[0,0,0,0] row_mask:0xf bank_mask:0xf// 000000009014: 0BE908FA FF0000FD
	v_mul_f32_dpp v245, v253, v133 quad_perm:[1,1,1,1] row_mask:0xf bank_mask:0xf// 00000000901C: 0BEB0AFA FF0055FD
	v_mul_f32_dpp v246, v253, v134 quad_perm:[2,2,2,2] row_mask:0xf bank_mask:0xf// 000000009024: 0BED0CFA FF00AAFD
	v_mul_f32_dpp v247, v253, v135 quad_perm:[3,3,3,3] row_mask:0xf bank_mask:0xf// 00000000902C: 0BEF0EFA FF00FFFD
	v_mul_f32_dpp v248, v254, v136 quad_perm:[0,0,0,0] row_mask:0xf bank_mask:0xf// 000000009034: 0BF110FA FF0000FE
	v_mul_f32_dpp v249, v254, v137 quad_perm:[1,1,1,1] row_mask:0xf bank_mask:0xf// 00000000903C: 0BF312FA FF0055FE
	v_mul_f32_dpp v250, v254, v138 quad_perm:[2,2,2,2] row_mask:0xf bank_mask:0xf// 000000009044: 0BF514FA FF00AAFE
	v_mul_f32_dpp v251, v254, v139 quad_perm:[3,3,3,3] row_mask:0xf bank_mask:0xf// 00000000904C: 0BF716FA FF00FFFE
	v_mul_f32_dpp v252, v255, v140 quad_perm:[0,0,0,0] row_mask:0xf bank_mask:0xf// 000000009054: 0BF918FA FF0000FF
	v_mul_f32_dpp v253, v255, v141 quad_perm:[1,1,1,1] row_mask:0xf bank_mask:0xf// 00000000905C: 0BFB1AFA FF0055FF
	v_mul_f32_dpp v254, v255, v142 quad_perm:[2,2,2,2] row_mask:0xf bank_mask:0xf// 000000009064: 0BFD1CFA FF00AAFF
	v_mul_f32_dpp v255, v255, v143 quad_perm:[3,3,3,3] row_mask:0xf bank_mask:0xf// 00000000906C: 0BFF1EFA FF00FFFF
	v_mov_b32_e32 v48, 0x358637bd                              // 000000009074: 7E6002FF 358637BD
	v_max3_f32 v48, |v240|, |v241|, v48                        // 00000000907C: D1D30330 04C3E3F0
	v_max3_f32 v48, |v242|, |v243|, v48                        // 000000009084: D1D30330 04C3E7F2
	v_max3_f32 v48, |v244|, |v245|, v48                        // 00000000908C: D1D30330 04C3EBF4
	v_max3_f32 v48, |v246|, |v247|, v48                        // 000000009094: D1D30330 04C3EFF6
	v_max3_f32 v48, |v248|, |v249|, v48                        // 00000000909C: D1D30330 04C3F3F8
	v_max3_f32 v48, |v250|, |v251|, v48                        // 0000000090A4: D1D30330 04C3F7FA
	v_max3_f32 v48, |v252|, |v253|, v48                        // 0000000090AC: D1D30330 04C3FBFC
	v_max3_f32 v48, |v254|, |v255|, v48                        // 0000000090B4: D1D30330 04C3FFFE
	ds_write_b32 v8, v48 offset:20992                          // 0000000090BC: D81A5200 00003008
	v_sub_f32_e32 v50, v12, v15                                // 0000000090C4: 04641F0C
	v_cndmask_b32_e64 v50, v50, 0, s[40:41]                    // 0000000090C8: D1000032 00A10132
	v_mov_b32_e32 v12, v15                                     // 0000000090D0: 7E18030F
	v_mul_f32_e32 v50, s64, v50                                // 0000000090D4: 0A646440
	v_exp_f32_e32 v50, v50                                     // 0000000090D8: 7E644132
	s_waitcnt lgkmcnt(0)                                       // 0000000090DC: BF8CC07F
	s_barrier                                                  // 0000000090E0: BF8A0000
	ds_read_b32 v64, v7 offset:20992                           // 0000000090E4: D86C5200 40000007
	ds_read_b32 v65, v7 offset:21056                           // 0000000090EC: D86C5240 41000007
	ds_read_b32 v66, v7 offset:21120                           // 0000000090F4: D86C5280 42000007
	ds_read_b32 v67, v7 offset:21184                           // 0000000090FC: D86C52C0 43000007
	ds_read_b32 v68, v7 offset:21248                           // 000000009104: D86C5300 44000007
	ds_read_b32 v69, v7 offset:21312                           // 00000000910C: D86C5340 45000007
	ds_read_b32 v70, v7 offset:21376                           // 000000009114: D86C5380 46000007
	ds_read_b32 v71, v7 offset:21440                           // 00000000911C: D86C53C0 47000007
	ds_read_b32 v72, v7 offset:21504                           // 000000009124: D86C5400 48000007
	ds_read_b32 v73, v7 offset:21568                           // 00000000912C: D86C5440 49000007
	ds_read_b32 v74, v7 offset:21632                           // 000000009134: D86C5480 4A000007
	ds_read_b32 v75, v7 offset:21696                           // 00000000913C: D86C54C0 4B000007
	ds_read_b32 v76, v7 offset:21760                           // 000000009144: D86C5500 4C000007
	ds_read_b32 v77, v7 offset:21824                           // 00000000914C: D86C5540 4D000007
	ds_read_b32 v78, v7 offset:21888                           // 000000009154: D86C5580 4E000007
	ds_read_b32 v79, v7 offset:21952                           // 00000000915C: D86C55C0 4F000007
	v_mul_f32_e32 v39, v50, v39                                // 000000009164: 0A4E4F32
	v_mov_b32_e32 v15, v128                                    // 000000009168: 7E1E0380
	v_add_f32_e32 v15, v129, v15                               // 00000000916C: 021E1F81
	v_add_f32_e32 v15, v130, v15                               // 000000009170: 021E1F82
	v_add_f32_e32 v15, v131, v15                               // 000000009174: 021E1F83
	v_add_f32_e32 v15, v132, v15                               // 000000009178: 021E1F84
	v_add_f32_e32 v15, v133, v15                               // 00000000917C: 021E1F85
	v_add_f32_e32 v15, v134, v15                               // 000000009180: 021E1F86
	v_add_f32_e32 v15, v135, v15                               // 000000009184: 021E1F87
	v_add_f32_e32 v15, v136, v15                               // 000000009188: 021E1F88
	v_add_f32_e32 v15, v137, v15                               // 00000000918C: 021E1F89
	v_add_f32_e32 v15, v138, v15                               // 000000009190: 021E1F8A
	v_add_f32_e32 v15, v139, v15                               // 000000009194: 021E1F8B
	v_add_f32_e32 v15, v140, v15                               // 000000009198: 021E1F8C
	v_add_f32_e32 v15, v141, v15                               // 00000000919C: 021E1F8D
	v_add_f32_e32 v15, v142, v15                               // 0000000091A0: 021E1F8E
	v_add_f32_e32 v15, v143, v15                               // 0000000091A4: 021E1F8F
	v_add_f32_e32 v39, v15, v39                                // 0000000091A8: 024E4F0F
	s_waitcnt lgkmcnt(0)                                       // 0000000091AC: BF8CC07F
	v_max3_f32 v48, |v64|, |v65|, v48                          // 0000000091B0: D1D30330 04C28340
	v_max3_f32 v48, |v66|, |v67|, v48                          // 0000000091B8: D1D30330 04C28742
	v_max3_f32 v48, |v68|, |v69|, v48                          // 0000000091C0: D1D30330 04C28B44
	v_max3_f32 v48, |v70|, |v71|, v48                          // 0000000091C8: D1D30330 04C28F46
	v_max3_f32 v48, |v72|, |v73|, v48                          // 0000000091D0: D1D30330 04C29348
	v_max3_f32 v48, |v74|, |v75|, v48                          // 0000000091D8: D1D30330 04C2974A
	v_max3_f32 v48, |v76|, |v77|, v48                          // 0000000091E0: D1D30330 04C29B4C
	v_max3_f32 v48, |v78|, |v79|, v48                          // 0000000091E8: D1D30330 04C29F4E
	s_nop 2                                                    // 0000000091F0: BF800002
	v_rcp_f32_e32 v48, v48                                     // 0000000091F4: 7E604530
	s_nop 1                                                    // 0000000091F8: BF800001
	v_mul_f32_e32 v48, 0x42fe0000, v48                         // 0000000091FC: 0A6060FF 42FE0000
	v_mul_f32_e32 v128, v48, v240                              // 000000009204: 0B01E130
	v_mul_f32_e32 v129, v48, v241                              // 000000009208: 0B03E330
	v_mul_f32_e32 v130, v48, v242                              // 00000000920C: 0B05E530
	v_mul_f32_e32 v131, v48, v243                              // 000000009210: 0B07E730
	v_mul_f32_e32 v132, v48, v244                              // 000000009214: 0B09E930
	v_mul_f32_e32 v133, v48, v245                              // 000000009218: 0B0BEB30
	v_mul_f32_e32 v134, v48, v246                              // 00000000921C: 0B0DED30
	v_mul_f32_e32 v135, v48, v247                              // 000000009220: 0B0FEF30
	v_mul_f32_e32 v136, v48, v248                              // 000000009224: 0B11F130
	v_mul_f32_e32 v137, v48, v249                              // 000000009228: 0B13F330
	v_mul_f32_e32 v138, v48, v250                              // 00000000922C: 0B15F530
	v_mul_f32_e32 v139, v48, v251                              // 000000009230: 0B17F730
	v_mul_f32_e32 v140, v48, v252                              // 000000009234: 0B19F930
	v_mul_f32_e32 v141, v48, v253                              // 000000009238: 0B1BFB30
	v_mul_f32_e32 v142, v48, v254                              // 00000000923C: 0B1DFD30
	v_mul_f32_e32 v143, v48, v255                              // 000000009240: 0B1FFF30
	v_cvt_i32_f32_e32 v128, v128                               // 000000009244: 7F001180
	v_cvt_i32_f32_e32 v129, v129                               // 000000009248: 7F021181
	v_cvt_i32_f32_e32 v130, v130                               // 00000000924C: 7F041182
	v_cvt_i32_f32_e32 v131, v131                               // 000000009250: 7F061183
	v_cvt_i32_f32_e32 v132, v132                               // 000000009254: 7F081184
	v_cvt_i32_f32_e32 v133, v133                               // 000000009258: 7F0A1185
	v_cvt_i32_f32_e32 v134, v134                               // 00000000925C: 7F0C1186
	v_cvt_i32_f32_e32 v135, v135                               // 000000009260: 7F0E1187
	v_cvt_i32_f32_e32 v136, v136                               // 000000009264: 7F101188
	v_cvt_i32_f32_e32 v137, v137                               // 000000009268: 7F121189
	v_cvt_i32_f32_e32 v138, v138                               // 00000000926C: 7F14118A
	v_cvt_i32_f32_e32 v139, v139                               // 000000009270: 7F16118B
	v_cvt_i32_f32_e32 v140, v140                               // 000000009274: 7F18118C
	v_cvt_i32_f32_e32 v141, v141                               // 000000009278: 7F1A118D
	v_cvt_i32_f32_e32 v142, v142                               // 00000000927C: 7F1C118E
	v_cvt_i32_f32_e32 v143, v143                               // 000000009280: 7F1E118F
	v_perm_b32 v128, v129, v128, s53                           // 000000009284: D1ED0080 00D70181
	v_perm_b32 v128, v130, v128, s54                           // 00000000928C: D1ED0080 00DB0182
	v_perm_b32 v128, v131, v128, s55                           // 000000009294: D1ED0080 00DF0183
	v_perm_b32 v129, v133, v132, s53                           // 00000000929C: D1ED0081 00D70985
	v_perm_b32 v129, v134, v129, s54                           // 0000000092A4: D1ED0081 00DB0386
	v_perm_b32 v129, v135, v129, s55                           // 0000000092AC: D1ED0081 00DF0387
	v_perm_b32 v130, v137, v136, s53                           // 0000000092B4: D1ED0082 00D71189
	v_perm_b32 v130, v138, v130, s54                           // 0000000092BC: D1ED0082 00DB058A
	v_perm_b32 v130, v139, v130, s55                           // 0000000092C4: D1ED0082 00DF058B
	v_perm_b32 v131, v141, v140, s53                           // 0000000092CC: D1ED0083 00D7198D
	v_perm_b32 v131, v142, v131, s54                           // 0000000092D4: D1ED0083 00DB078E
	v_perm_b32 v131, v143, v131, s55                           // 0000000092DC: D1ED0083 00DF078F
	ds_write_b32 v10, v128 offset:29184                        // 0000000092E4: D81A7200 0000800A
	ds_write_b32 v10, v129 offset:30208                        // 0000000092EC: D81A7600 0000810A
	ds_write_b32 v10, v130 offset:31232                        // 0000000092F4: D81A7A00 0000820A
	ds_write_b32 v10, v131 offset:32256                        // 0000000092FC: D81A7E00 0000830A
	v_add_f32_e32 v216, v216, v184                             // 000000009304: 03B171D8
	v_add_f32_e32 v217, v217, v185                             // 000000009308: 03B373D9
	v_add_f32_e32 v218, v218, v186                             // 00000000930C: 03B575DA
	v_add_f32_e32 v219, v219, v187                             // 000000009310: 03B777DB
	v_add_f32_e32 v220, v220, v188                             // 000000009314: 03B979DC
	v_add_f32_e32 v221, v221, v189                             // 000000009318: 03BB7BDD
	v_add_f32_e32 v222, v222, v190                             // 00000000931C: 03BD7DDE
	v_add_f32_e32 v223, v223, v191                             // 000000009320: 03BF7FDF
	v_rcp_f32_e32 v45, v48                                     // 000000009324: 7E5A4530
	s_waitcnt lgkmcnt(0)                                       // 000000009328: BF8CC07F
	s_barrier                                                  // 00000000932C: BF8A0000
	ds_read_b64 v[128:129], v9 offset:29184                    // 000000009330: D8EC7200 80000009
	ds_read_b64 v[130:131], v9 offset:29312                    // 000000009338: D8EC7280 82000009
	ds_read_b64 v[132:133], v9 offset:30208                    // 000000009340: D8EC7600 84000009
	ds_read_b64 v[134:135], v9 offset:30336                    // 000000009348: D8EC7680 86000009
	ds_read_b64 v[136:137], v9 offset:31232                    // 000000009350: D8EC7A00 88000009
	ds_read_b64 v[138:139], v9 offset:31360                    // 000000009358: D8EC7A80 8A000009
	ds_read_b64 v[140:141], v9 offset:32256                    // 000000009360: D8EC7E00 8C000009
	ds_read_b64 v[142:143], v9 offset:32384                    // 000000009368: D8EC7E80 8E000009
	s_waitcnt vmcnt(15)                                        // 000000009370: BF8C0F7F
	v_mfma_i32_16x16x32_i8 v[176:179], a[64:65], v[112:113], 0 // 000000009374: D3D700B0 0A02E140
	v_mfma_i32_16x16x32_i8 v[176:179], a[66:67], v[114:115], v[176:179]// 00000000937C: D3D700B0 0EC2E542
	buffer_load_dwordx4 a[112:115], v34, s[20:23], 0 offen offset:1024// 000000009384: E05C1400 80857022
	v_mfma_i32_16x16x32_i8 v[176:179], a[68:69], v[116:117], v[176:179]// 00000000938C: D3D700B0 0EC2E944
	v_mfma_i32_16x16x32_i8 v[176:179], a[70:71], v[118:119], v[176:179]// 000000009394: D3D700B0 0EC2ED46
	v_mfma_i32_16x16x32_i8 v[176:179], a[72:73], v[120:121], v[176:179]// 00000000939C: D3D700B0 0EC2F148
	v_mfma_i32_16x16x32_i8 v[176:179], a[74:75], v[122:123], v[176:179]// 0000000093A4: D3D700B0 0EC2F54A
	buffer_load_dwordx4 a[116:119], v35, s[20:23], 0 offen offset:1024// 0000000093AC: E05C1400 80857423
	v_mfma_i32_16x16x32_i8 v[176:179], a[76:77], v[124:125], v[176:179]// 0000000093B4: D3D700B0 0EC2F94C
	v_mfma_i32_16x16x32_i8 v[176:179], a[78:79], v[126:127], v[176:179]// 0000000093BC: D3D700B0 0EC2FD4E
	v_mfma_i32_16x16x32_i8 v[180:183], a[80:81], v[112:113], 0 // 0000000093C4: D3D700B4 0A02E150
	v_mfma_i32_16x16x32_i8 v[180:183], a[82:83], v[114:115], v[180:183]// 0000000093CC: D3D700B4 0ED2E552
	buffer_load_dwordx4 a[120:123], v36, s[20:23], 0 offen offset:1024// 0000000093D4: E05C1400 80857824
	v_mfma_i32_16x16x32_i8 v[180:183], a[84:85], v[116:117], v[180:183]// 0000000093DC: D3D700B4 0ED2E954
	v_mfma_i32_16x16x32_i8 v[180:183], a[86:87], v[118:119], v[180:183]// 0000000093E4: D3D700B4 0ED2ED56
	v_mfma_i32_16x16x32_i8 v[180:183], a[88:89], v[120:121], v[180:183]// 0000000093EC: D3D700B4 0ED2F158
	v_mfma_i32_16x16x32_i8 v[180:183], a[90:91], v[122:123], v[180:183]// 0000000093F4: D3D700B4 0ED2F55A
	buffer_load_dwordx4 a[124:127], v37, s[20:23], 0 offen offset:1024// 0000000093FC: E05C1400 80857C25
	v_mfma_i32_16x16x32_i8 v[180:183], a[92:93], v[124:125], v[180:183]// 000000009404: D3D700B4 0ED2F95C
	s_lshr_b32 s57, s70, 4                                     // 00000000940C: 8F398446
	s_add_u32 s57, 48, s57                                     // 000000009410: 803939B0
	v_mfma_i32_16x16x32_i8 v[180:183], a[94:95], v[126:127], v[180:183]// 000000009414: D3D700B4 0ED2FD5E
	s_cmp_ge_u32 s57, s73                                      // 00000000941C: BF094939
	s_cselect_b32 s56, 0, s56                                  // 000000009420: 85383880
	v_mfma_i32_16x16x32_i8 v[184:187], a[64:65], v[128:129], 0 // 000000009424: D3D700B8 0A030140
	v_mfma_i32_16x16x32_i8 v[184:187], a[66:67], v[130:131], v[184:187]// 00000000942C: D3D700B8 0EE30542
	v_mfma_i32_16x16x32_i8 v[184:187], a[68:69], v[132:133], v[184:187]// 000000009434: D3D700B8 0EE30944
	v_mfma_i32_16x16x32_i8 v[184:187], a[70:71], v[134:135], v[184:187]// 00000000943C: D3D700B8 0EE30D46
	v_mfma_i32_16x16x32_i8 v[184:187], a[72:73], v[136:137], v[184:187]// 000000009444: D3D700B8 0EE31148
	v_mfma_i32_16x16x32_i8 v[184:187], a[74:75], v[138:139], v[184:187]// 00000000944C: D3D700B8 0EE3154A
	v_mfma_i32_16x16x32_i8 v[184:187], a[76:77], v[140:141], v[184:187]// 000000009454: D3D700B8 0EE3194C
	v_mfma_i32_16x16x32_i8 v[184:187], a[78:79], v[142:143], v[184:187]// 00000000945C: D3D700B8 0EE31D4E
	v_mfma_i32_16x16x32_i8 v[188:191], a[80:81], v[128:129], 0 // 000000009464: D3D700BC 0A030150
	v_mfma_i32_16x16x32_i8 v[188:191], a[82:83], v[130:131], v[188:191]// 00000000946C: D3D700BC 0EF30552
	v_mfma_i32_16x16x32_i8 v[188:191], a[84:85], v[132:133], v[188:191]// 000000009474: D3D700BC 0EF30954
	v_mfma_i32_16x16x32_i8 v[188:191], a[86:87], v[134:135], v[188:191]// 00000000947C: D3D700BC 0EF30D56
	v_mfma_i32_16x16x32_i8 v[188:191], a[88:89], v[136:137], v[188:191]// 000000009484: D3D700BC 0EF31158
	v_mfma_i32_16x16x32_i8 v[188:191], a[90:91], v[138:139], v[188:191]// 00000000948C: D3D700BC 0EF3155A
	v_mfma_i32_16x16x32_i8 v[188:191], a[92:93], v[140:141], v[188:191]// 000000009494: D3D700BC 0EF3195C
	v_mfma_i32_16x16x32_i8 v[188:191], a[94:95], v[142:143], v[188:191]// 00000000949C: D3D700BC 0EF31D5E
	v_add_u32_e32 v1, s56, v1                                  // 0000000094A4: 68020238
	s_addk_i32 s70, 0x100                                      // 0000000094A8: B7460100
	s_cmp_lt_i32 s70, s71                                      // 0000000094AC: BF044746
	s_cbranch_scc0 label_2233                                  // 0000000094B0: BF840586
	s_waitcnt vmcnt(8) lgkmcnt(0)                              // 0000000094B4: BF8C0078
	v_mul_u32_u24_dpp v64, v16, v54 row_newbcast:0 row_mask:0xf bank_mask:0xf// 0000000094B8: 10806CFA FF015010
	v_mul_u32_u24_dpp v65, v16, v54 row_newbcast:4 row_mask:0xf bank_mask:0xf// 0000000094C0: 10826CFA FF015410
	v_mul_u32_u24_dpp v66, v16, v54 row_newbcast:8 row_mask:0xf bank_mask:0xf// 0000000094C8: 10846CFA FF015810
	v_mul_u32_u24_dpp v67, v16, v54 row_newbcast:12 row_mask:0xf bank_mask:0xf// 0000000094D0: 10866CFA FF015C10
	v_add_u32_e32 v22, v64, v5                                 // 0000000094D8: 682C0B40
	v_add_u32_e32 v23, v65, v5                                 // 0000000094DC: 682E0B41
	v_add_u32_e32 v24, v66, v5                                 // 0000000094E0: 68300B42
	v_add_u32_e32 v25, v67, v5                                 // 0000000094E4: 68320B43
	v_mul_u32_u24_dpp v64, v16, v63 quad_perm:[0,0,0,0] row_mask:0xf bank_mask:0xf// 0000000094E8: 10807EFA FF000010
	v_add_u32_e32 v2, v64, v59                                 // 0000000094F0: 68047740
	v_mul_u32_u24_dpp v64, v16, v63 quad_perm:[0,0,0,0] row_mask:0xf bank_mask:0xf// 0000000094F4: 10807EFA FF000010
	v_add_u32_e32 v55, v64, v60                                // 0000000094FC: 686E7940
	v_mfma_i32_16x16x32_i8 v[112:115], a[32:33], v[80:81], 0   // 000000009500: D3D70070 0A02A120
	v_mfma_i32_16x16x32_i8 v[112:115], a[34:35], v[82:83], v[112:115]// 000000009508: D3D70070 0DC2A522
	buffer_load_dwordx4 a[0:3], v22, s[16:19], 0 offen         // 000000009510: E05C1000 80840016
	v_mfma_i32_16x16x32_i8 v[112:115], a[36:37], v[84:85], v[112:115]// 000000009518: D3D70070 0DC2A924
	v_mfma_i32_16x16x32_i8 v[112:115], a[38:39], v[86:87], v[112:115]// 000000009520: D3D70070 0DC2AD26
	buffer_load_dword v17, v1, s[24:27], 0 offen               // 000000009528: E0501000 80061101
	v_mfma_i32_16x16x32_i8 v[116:119], a[40:41], v[80:81], 0   // 000000009530: D3D70074 0A02A128
	v_mfma_i32_16x16x32_i8 v[116:119], a[42:43], v[82:83], v[116:119]// 000000009538: D3D70074 0DD2A52A
	buffer_load_dwordx4 a[4:7], v22, s[16:19], 0 offen offset:1024// 000000009540: E05C1400 80840416
	v_mfma_i32_16x16x32_i8 v[116:119], a[44:45], v[84:85], v[116:119]// 000000009548: D3D70074 0DD2A92C
	v_mfma_i32_16x16x32_i8 v[116:119], a[46:47], v[86:87], v[116:119]// 000000009550: D3D70074 0DD2AD2E
	v_mfma_i32_16x16x32_i8 v[120:123], a[48:49], v[80:81], 0   // 000000009558: D3D70078 0A02A130
	v_mfma_i32_16x16x32_i8 v[120:123], a[50:51], v[82:83], v[120:123]// 000000009560: D3D70078 0DE2A532
	buffer_load_dwordx4 a[8:11], v23, s[16:19], 0 offen        // 000000009568: E05C1000 80840817
	v_mfma_i32_16x16x32_i8 v[120:123], a[52:53], v[84:85], v[120:123]// 000000009570: D3D70078 0DE2A934
	v_mfma_i32_16x16x32_i8 v[120:123], a[54:55], v[86:87], v[120:123]// 000000009578: D3D70078 0DE2AD36
	v_mfma_i32_16x16x32_i8 v[124:127], a[56:57], v[80:81], 0   // 000000009580: D3D7007C 0A02A138
	v_mfma_i32_16x16x32_i8 v[124:127], a[58:59], v[82:83], v[124:127]// 000000009588: D3D7007C 0DF2A53A
	buffer_load_dwordx4 a[12:15], v23, s[16:19], 0 offen offset:1024// 000000009590: E05C1400 80840C17
	v_mfma_i32_16x16x32_i8 v[124:127], a[60:61], v[84:85], v[124:127]// 000000009598: D3D7007C 0DF2A93C
	v_mfma_i32_16x16x32_i8 v[124:127], a[62:63], v[86:87], v[124:127]// 0000000095A0: D3D7007C 0DF2AD3E
	v_mfma_i32_16x16x32_i8 v[128:131], a[32:33], v[88:89], 0   // 0000000095A8: D3D70080 0A02B120
	v_mfma_i32_16x16x32_i8 v[128:131], a[34:35], v[90:91], v[128:131]// 0000000095B0: D3D70080 0E02B522
	v_mfma_i32_16x16x32_i8 v[128:131], a[36:37], v[92:93], v[128:131]// 0000000095B8: D3D70080 0E02B924
	v_mfma_i32_16x16x32_i8 v[128:131], a[38:39], v[94:95], v[128:131]// 0000000095C0: D3D70080 0E02BD26
	v_mfma_i32_16x16x32_i8 v[132:135], a[40:41], v[88:89], 0   // 0000000095C8: D3D70084 0A02B128
	v_mfma_i32_16x16x32_i8 v[132:135], a[42:43], v[90:91], v[132:135]// 0000000095D0: D3D70084 0E12B52A
	v_mfma_i32_16x16x32_i8 v[132:135], a[44:45], v[92:93], v[132:135]// 0000000095D8: D3D70084 0E12B92C
	v_mfma_i32_16x16x32_i8 v[132:135], a[46:47], v[94:95], v[132:135]// 0000000095E0: D3D70084 0E12BD2E
	v_mfma_i32_16x16x32_i8 v[136:139], a[48:49], v[88:89], 0   // 0000000095E8: D3D70088 0A02B130
	v_mfma_i32_16x16x32_i8 v[136:139], a[50:51], v[90:91], v[136:139]// 0000000095F0: D3D70088 0E22B532
	v_mfma_i32_16x16x32_i8 v[136:139], a[52:53], v[92:93], v[136:139]// 0000000095F8: D3D70088 0E22B934
	v_mfma_i32_16x16x32_i8 v[136:139], a[54:55], v[94:95], v[136:139]// 000000009600: D3D70088 0E22BD36
	v_mfma_i32_16x16x32_i8 v[140:143], a[56:57], v[88:89], 0   // 000000009608: D3D7008C 0A02B138
	v_mfma_i32_16x16x32_i8 v[140:143], a[58:59], v[90:91], v[140:143]// 000000009610: D3D7008C 0E32B53A
	v_mfma_i32_16x16x32_i8 v[140:143], a[60:61], v[92:93], v[140:143]// 000000009618: D3D7008C 0E32B93C
	v_mfma_i32_16x16x32_i8 v[140:143], a[62:63], v[94:95], v[140:143]// 000000009620: D3D7008C 0E32BD3E
	buffer_load_dword v42, v2, s[32:35], 0 offen               // 000000009628: E0501000 80082A02
	v_mov_b32_dpp v64, v43 row_shr:4 row_mask:0xf bank_mask:0xf// 000000009630: 7E8002FA FF01142B
	v_mov_b32_dpp v65, v43 row_shl:4 row_mask:0xf bank_mask:0xf// 000000009638: 7E8202FA FF01042B
	v_cndmask_b32_e64 v248, v43, v64, s[44:45]                 // 000000009640: D10000F8 00B2812B
	v_cndmask_b32_e64 v249, v65, v43, s[44:45]                 // 000000009648: D10000F9 00B25741
	v_mov_b32_dpp v64, v248 row_shr:8 row_mask:0xf bank_mask:0xf// 000000009650: 7E8002FA FF0118F8
	v_mov_b32_dpp v65, v248 row_shl:8 row_mask:0xf bank_mask:0xf// 000000009658: 7E8202FA FF0108F8
	v_mov_b32_dpp v66, v249 row_shr:8 row_mask:0xf bank_mask:0xf// 000000009660: 7E8402FA FF0118F9
	v_mov_b32_dpp v67, v249 row_shl:8 row_mask:0xf bank_mask:0xf// 000000009668: 7E8602FA FF0108F9
	v_mov_b32_e32 v68, v248                                    // 000000009670: 7E8803F8
	v_mov_b32_e32 v69, v249                                    // 000000009674: 7E8A03F9
	v_cndmask_b32_e64 v248, v68, v64, s[42:43]                 // 000000009678: D10000F8 00AA8144
	v_cndmask_b32_e64 v250, v68, v65, s[78:79]                 // 000000009680: D10000FA 013A8344
	v_cndmask_b32_e64 v249, v69, v66, s[42:43]                 // 000000009688: D10000F9 00AA8545
	v_cndmask_b32_e64 v251, v69, v67, s[78:79]                 // 000000009690: D10000FB 013A8745
	v_mov_b32_dpp v64, v58 row_shr:4 row_mask:0xf bank_mask:0xf// 000000009698: 7E8002FA FF01143A
	v_mov_b32_dpp v65, v58 row_shl:4 row_mask:0xf bank_mask:0xf// 0000000096A0: 7E8202FA FF01043A
	v_cndmask_b32_e64 v252, v58, v64, s[44:45]                 // 0000000096A8: D10000FC 00B2813A
	v_cndmask_b32_e64 v253, v65, v58, s[44:45]                 // 0000000096B0: D10000FD 00B27541
	v_mov_b32_dpp v64, v252 row_shr:8 row_mask:0xf bank_mask:0xf// 0000000096B8: 7E8002FA FF0118FC
	v_mov_b32_dpp v65, v252 row_shl:8 row_mask:0xf bank_mask:0xf// 0000000096C0: 7E8202FA FF0108FC
	v_mov_b32_dpp v66, v253 row_shr:8 row_mask:0xf bank_mask:0xf// 0000000096C8: 7E8402FA FF0118FD
	v_mov_b32_dpp v67, v253 row_shl:8 row_mask:0xf bank_mask:0xf// 0000000096D0: 7E8602FA FF0108FD
	v_mov_b32_e32 v68, v252                                    // 0000000096D8: 7E8803FC
	v_mov_b32_e32 v69, v253                                    // 0000000096DC: 7E8A03FD
	v_cndmask_b32_e64 v252, v68, v64, s[42:43]                 // 0000000096E0: D10000FC 00AA8144
	v_cndmask_b32_e64 v254, v68, v65, s[78:79]                 // 0000000096E8: D10000FE 013A8344
	v_cndmask_b32_e64 v253, v69, v66, s[42:43]                 // 0000000096F0: D10000FD 00AA8545
	v_cndmask_b32_e64 v255, v69, v67, s[78:79]                 // 0000000096F8: D10000FF 013A8745
	buffer_load_dword v57, v55, s[36:39], 0 offen              // 000000009700: E0501000 80093937
	v_cvt_f32_i32_e32 v112, v112                               // 000000009708: 7EE00B70
	v_cvt_f32_i32_e32 v113, v113                               // 00000000970C: 7EE20B71
	v_cvt_f32_i32_e32 v114, v114                               // 000000009710: 7EE40B72
	v_cvt_f32_i32_e32 v115, v115                               // 000000009714: 7EE60B73
	v_cvt_f32_i32_e32 v116, v116                               // 000000009718: 7EE80B74
	v_cvt_f32_i32_e32 v117, v117                               // 00000000971C: 7EEA0B75
	v_cvt_f32_i32_e32 v118, v118                               // 000000009720: 7EEC0B76
	v_cvt_f32_i32_e32 v119, v119                               // 000000009724: 7EEE0B77
	v_cvt_f32_i32_e32 v120, v120                               // 000000009728: 7EF00B78
	v_cvt_f32_i32_e32 v121, v121                               // 00000000972C: 7EF20B79
	v_cvt_f32_i32_e32 v122, v122                               // 000000009730: 7EF40B7A
	v_cvt_f32_i32_e32 v123, v123                               // 000000009734: 7EF60B7B
	v_cvt_f32_i32_e32 v124, v124                               // 000000009738: 7EF80B7C
	v_cvt_f32_i32_e32 v125, v125                               // 00000000973C: 7EFA0B7D
	v_cvt_f32_i32_e32 v126, v126                               // 000000009740: 7EFC0B7E
	v_cvt_f32_i32_e32 v127, v127                               // 000000009744: 7EFE0B7F
	v_mul_f32_e32 v112, v18, v112                              // 000000009748: 0AE0E112
	v_mul_f32_e32 v113, v18, v113                              // 00000000974C: 0AE2E312
	v_mul_f32_e32 v114, v18, v114                              // 000000009750: 0AE4E512
	v_mul_f32_e32 v115, v18, v115                              // 000000009754: 0AE6E712
	v_mul_f32_e32 v116, v18, v116                              // 000000009758: 0AE8E912
	v_mul_f32_e32 v117, v18, v117                              // 00000000975C: 0AEAEB12
	v_mul_f32_e32 v118, v18, v118                              // 000000009760: 0AECED12
	v_mul_f32_e32 v119, v18, v119                              // 000000009764: 0AEEEF12
	v_mul_f32_e32 v120, v18, v120                              // 000000009768: 0AF0F112
	v_mul_f32_e32 v121, v18, v121                              // 00000000976C: 0AF2F312
	v_mul_f32_e32 v122, v18, v122                              // 000000009770: 0AF4F512
	v_mul_f32_e32 v123, v18, v123                              // 000000009774: 0AF6F712
	v_mul_f32_e32 v124, v18, v124                              // 000000009778: 0AF8F912
	v_mul_f32_e32 v125, v18, v125                              // 00000000977C: 0AFAFB12
	v_mul_f32_e32 v126, v18, v126                              // 000000009780: 0AFCFD12
	v_mul_f32_e32 v127, v18, v127                              // 000000009784: 0AFEFF12
	buffer_load_dwordx4 a[16:19], v24, s[16:19], 0 offen       // 000000009788: E05C1000 80841018
	v_mul_f32_dpp v112, v248, v112 quad_perm:[0,0,0,0] row_mask:0xf bank_mask:0xf// 000000009790: 0AE0E0FA FF0000F8
	v_mul_f32_dpp v113, v248, v113 quad_perm:[1,1,1,1] row_mask:0xf bank_mask:0xf// 000000009798: 0AE2E2FA FF0055F8
	v_mul_f32_dpp v114, v248, v114 quad_perm:[2,2,2,2] row_mask:0xf bank_mask:0xf// 0000000097A0: 0AE4E4FA FF00AAF8
	v_mul_f32_dpp v115, v248, v115 quad_perm:[3,3,3,3] row_mask:0xf bank_mask:0xf// 0000000097A8: 0AE6E6FA FF00FFF8
	v_mul_f32_dpp v116, v249, v116 quad_perm:[0,0,0,0] row_mask:0xf bank_mask:0xf// 0000000097B0: 0AE8E8FA FF0000F9
	v_mul_f32_dpp v117, v249, v117 quad_perm:[1,1,1,1] row_mask:0xf bank_mask:0xf// 0000000097B8: 0AEAEAFA FF0055F9
	v_mul_f32_dpp v118, v249, v118 quad_perm:[2,2,2,2] row_mask:0xf bank_mask:0xf// 0000000097C0: 0AECECFA FF00AAF9
	v_mul_f32_dpp v119, v249, v119 quad_perm:[3,3,3,3] row_mask:0xf bank_mask:0xf// 0000000097C8: 0AEEEEFA FF00FFF9
	v_mul_f32_dpp v120, v250, v120 quad_perm:[0,0,0,0] row_mask:0xf bank_mask:0xf// 0000000097D0: 0AF0F0FA FF0000FA
	v_mul_f32_dpp v121, v250, v121 quad_perm:[1,1,1,1] row_mask:0xf bank_mask:0xf// 0000000097D8: 0AF2F2FA FF0055FA
	v_mul_f32_dpp v122, v250, v122 quad_perm:[2,2,2,2] row_mask:0xf bank_mask:0xf// 0000000097E0: 0AF4F4FA FF00AAFA
	v_mul_f32_dpp v123, v250, v123 quad_perm:[3,3,3,3] row_mask:0xf bank_mask:0xf// 0000000097E8: 0AF6F6FA FF00FFFA
	v_mul_f32_dpp v124, v251, v124 quad_perm:[0,0,0,0] row_mask:0xf bank_mask:0xf// 0000000097F0: 0AF8F8FA FF0000FB
	v_mul_f32_dpp v125, v251, v125 quad_perm:[1,1,1,1] row_mask:0xf bank_mask:0xf// 0000000097F8: 0AFAFAFA FF0055FB
	v_mul_f32_dpp v126, v251, v126 quad_perm:[2,2,2,2] row_mask:0xf bank_mask:0xf// 000000009800: 0AFCFCFA FF00AAFB
	v_mul_f32_dpp v127, v251, v127 quad_perm:[3,3,3,3] row_mask:0xf bank_mask:0xf// 000000009808: 0AFEFEFA FF00FFFB
	buffer_load_dwordx4 a[20:23], v24, s[16:19], 0 offen offset:1024// 000000009810: E05C1400 80841418
	s_cmp_le_i32 s90, s89                                      // 000000009818: BF05595A
	s_cbranch_scc1 label_1DF9                                  // 00000000981C: BF850071
	v_mov_b32_e32 v66, 0xff800000                              // 000000009820: 7E8402FF FF800000
	s_mov_b32 s60, s90                                         // 000000009828: BEBC005A
	s_add_u32 s61, s89, 0xff                                   // 00000000982C: 803DFF59 000000FF
	v_mov_b32_e32 v64, s61                                     // 000000009834: 7E80023D
	v_lshrrev_b32_e32 v240, 4, v0                              // 000000009838: 21E00084
	v_mul_i32_i24_e32 v240, 4, v240                            // 00000000983C: 0DE1E084
	v_add_u32_e32 v240, s60, v240                              // 000000009840: 69E1E03C
	s_mov_b32 s61, 0                                           // 000000009844: BEBD0080
	s_mul_i32 s60, 16, s7                                      // 000000009848: 923C0790
	v_sub_u32_e64 v240, v240, s61                              // 00000000984C: D13500F0 00007BF0
	v_add_u32_e32 v240, s60, v240                              // 000000009854: 69E1E03C
	v_add_u32_e32 v241, 1, v240                                // 000000009858: 69E3E081
	v_add_u32_e32 v242, 2, v240                                // 00000000985C: 69E5E082
	v_add_u32_e32 v243, 3, v240                                // 000000009860: 69E7E083
	v_cmp_le_u32_e64 s[40:41], v240, v64                       // 000000009864: D0CB0028 000281F0
	v_add_u32_e32 v240, 64, v240                               // 00000000986C: 69E1E0C0
	s_nop 0                                                    // 000000009870: BF800000
	v_cndmask_b32_e64 v112, v66, v112, s[40:41]                // 000000009874: D1000070 00A2E142
	v_cmp_le_u32_e64 s[40:41], v241, v64                       // 00000000987C: D0CB0028 000281F1
	v_add_u32_e32 v241, 64, v241                               // 000000009884: 69E3E2C0
	s_nop 0                                                    // 000000009888: BF800000
	v_cndmask_b32_e64 v113, v66, v113, s[40:41]                // 00000000988C: D1000071 00A2E342
	v_cmp_le_u32_e64 s[40:41], v242, v64                       // 000000009894: D0CB0028 000281F2
	v_add_u32_e32 v242, 64, v242                               // 00000000989C: 69E5E4C0
	s_nop 0                                                    // 0000000098A0: BF800000
	v_cndmask_b32_e64 v114, v66, v114, s[40:41]                // 0000000098A4: D1000072 00A2E542
	v_cmp_le_u32_e64 s[40:41], v243, v64                       // 0000000098AC: D0CB0028 000281F3
	v_add_u32_e32 v243, 64, v243                               // 0000000098B4: 69E7E6C0
	s_nop 0                                                    // 0000000098B8: BF800000
	v_cndmask_b32_e64 v115, v66, v115, s[40:41]                // 0000000098BC: D1000073 00A2E742
	v_cmp_le_u32_e64 s[40:41], v240, v64                       // 0000000098C4: D0CB0028 000281F0
	v_add_u32_e32 v240, 64, v240                               // 0000000098CC: 69E1E0C0
	s_nop 0                                                    // 0000000098D0: BF800000
	v_cndmask_b32_e64 v116, v66, v116, s[40:41]                // 0000000098D4: D1000074 00A2E942
	v_cmp_le_u32_e64 s[40:41], v241, v64                       // 0000000098DC: D0CB0028 000281F1
	v_add_u32_e32 v241, 64, v241                               // 0000000098E4: 69E3E2C0
	s_nop 0                                                    // 0000000098E8: BF800000
	v_cndmask_b32_e64 v117, v66, v117, s[40:41]                // 0000000098EC: D1000075 00A2EB42
	v_cmp_le_u32_e64 s[40:41], v242, v64                       // 0000000098F4: D0CB0028 000281F2
	v_add_u32_e32 v242, 64, v242                               // 0000000098FC: 69E5E4C0
	s_nop 0                                                    // 000000009900: BF800000
	v_cndmask_b32_e64 v118, v66, v118, s[40:41]                // 000000009904: D1000076 00A2ED42
	v_cmp_le_u32_e64 s[40:41], v243, v64                       // 00000000990C: D0CB0028 000281F3
	v_add_u32_e32 v243, 64, v243                               // 000000009914: 69E7E6C0
	s_nop 0                                                    // 000000009918: BF800000
	v_cndmask_b32_e64 v119, v66, v119, s[40:41]                // 00000000991C: D1000077 00A2EF42
	v_cmp_le_u32_e64 s[40:41], v240, v64                       // 000000009924: D0CB0028 000281F0
	v_add_u32_e32 v240, 64, v240                               // 00000000992C: 69E1E0C0
	s_nop 0                                                    // 000000009930: BF800000
	v_cndmask_b32_e64 v120, v66, v120, s[40:41]                // 000000009934: D1000078 00A2F142
	v_cmp_le_u32_e64 s[40:41], v241, v64                       // 00000000993C: D0CB0028 000281F1
	v_add_u32_e32 v241, 64, v241                               // 000000009944: 69E3E2C0
	s_nop 0                                                    // 000000009948: BF800000
	v_cndmask_b32_e64 v121, v66, v121, s[40:41]                // 00000000994C: D1000079 00A2F342
	v_cmp_le_u32_e64 s[40:41], v242, v64                       // 000000009954: D0CB0028 000281F2
	v_add_u32_e32 v242, 64, v242                               // 00000000995C: 69E5E4C0
	s_nop 0                                                    // 000000009960: BF800000
	v_cndmask_b32_e64 v122, v66, v122, s[40:41]                // 000000009964: D100007A 00A2F542
	v_cmp_le_u32_e64 s[40:41], v243, v64                       // 00000000996C: D0CB0028 000281F3
	v_add_u32_e32 v243, 64, v243                               // 000000009974: 69E7E6C0
	s_nop 0                                                    // 000000009978: BF800000
	v_cndmask_b32_e64 v123, v66, v123, s[40:41]                // 00000000997C: D100007B 00A2F742
	v_cmp_le_u32_e64 s[40:41], v240, v64                       // 000000009984: D0CB0028 000281F0
	v_add_u32_e32 v240, 64, v240                               // 00000000998C: 69E1E0C0
	s_nop 0                                                    // 000000009990: BF800000
	v_cndmask_b32_e64 v124, v66, v124, s[40:41]                // 000000009994: D100007C 00A2F942
	v_cmp_le_u32_e64 s[40:41], v241, v64                       // 00000000999C: D0CB0028 000281F1
	v_add_u32_e32 v241, 64, v241                               // 0000000099A4: 69E3E2C0
	s_nop 0                                                    // 0000000099A8: BF800000
	v_cndmask_b32_e64 v125, v66, v125, s[40:41]                // 0000000099AC: D100007D 00A2FB42
	v_cmp_le_u32_e64 s[40:41], v242, v64                       // 0000000099B4: D0CB0028 000281F2
	v_add_u32_e32 v242, 64, v242                               // 0000000099BC: 69E5E4C0
	s_nop 0                                                    // 0000000099C0: BF800000
	v_cndmask_b32_e64 v126, v66, v126, s[40:41]                // 0000000099C4: D100007E 00A2FD42
	v_cmp_le_u32_e64 s[40:41], v243, v64                       // 0000000099CC: D0CB0028 000281F3
	v_add_u32_e32 v243, 64, v243                               // 0000000099D4: 69E7E6C0
	s_nop 0                                                    // 0000000099D8: BF800000
	v_cndmask_b32_e64 v127, v66, v127, s[40:41]                // 0000000099DC: D100007F 00A2FF42

00000000000099e4 <label_1DF9>:
	v_mov_b32_e32 v48, v112                                    // 0000000099E4: 7E600370
	v_max3_f32 v48, v112, v113, v48                            // 0000000099E8: D1D30030 04C2E370
	v_max3_f32 v48, v114, v115, v48                            // 0000000099F0: D1D30030 04C2E772
	v_max3_f32 v48, v116, v117, v48                            // 0000000099F8: D1D30030 04C2EB74
	v_max3_f32 v48, v118, v119, v48                            // 000000009A00: D1D30030 04C2EF76
	v_max3_f32 v48, v120, v121, v48                            // 000000009A08: D1D30030 04C2F378
	v_max3_f32 v48, v122, v123, v48                            // 000000009A10: D1D30030 04C2F77A
	v_max3_f32 v48, v124, v125, v48                            // 000000009A18: D1D30030 04C2FB7C
	v_max3_f32 v48, v126, v127, v48                            // 000000009A20: D1D30030 04C2FF7E
	ds_write_b32 v8, v48 offset:16896                          // 000000009A28: D81A4200 00003008
	buffer_load_dwordx4 a[24:27], v25, s[16:19], 0 offen       // 000000009A30: E05C1000 80841819
	v_mul_u32_u24_dpp v64, v16, v54 row_newbcast:1 row_mask:0xf bank_mask:0xf// 000000009A38: 10806CFA FF015110
	v_mul_u32_u24_dpp v65, v16, v54 row_newbcast:5 row_mask:0xf bank_mask:0xf// 000000009A40: 10826CFA FF015510
	v_mul_u32_u24_dpp v66, v16, v54 row_newbcast:9 row_mask:0xf bank_mask:0xf// 000000009A48: 10846CFA FF015910
	v_mul_u32_u24_dpp v67, v16, v54 row_newbcast:13 row_mask:0xf bank_mask:0xf// 000000009A50: 10866CFA FF015D10
	v_add_u32_e32 v30, v64, v6                                 // 000000009A58: 683C0D40
	v_add_u32_e32 v31, v65, v6                                 // 000000009A5C: 683E0D41
	v_add_u32_e32 v32, v66, v6                                 // 000000009A60: 68400D42
	v_add_u32_e32 v33, v67, v6                                 // 000000009A64: 68420D43
	v_mul_f32_e32 v208, v49, v208                              // 000000009A68: 0BA1A131
	v_mul_f32_e32 v209, v49, v209                              // 000000009A6C: 0BA3A331
	v_mul_f32_e32 v210, v49, v210                              // 000000009A70: 0BA5A531
	v_mul_f32_e32 v211, v49, v211                              // 000000009A74: 0BA7A731
	v_mul_f32_e32 v212, v49, v212                              // 000000009A78: 0BA9A931
	v_mul_f32_e32 v213, v49, v213                              // 000000009A7C: 0BABAB31
	v_mul_f32_e32 v214, v49, v214                              // 000000009A80: 0BADAD31
	v_mul_f32_e32 v215, v49, v215                              // 000000009A84: 0BAFAF31
	s_waitcnt lgkmcnt(0)                                       // 000000009A88: BF8CC07F
	s_barrier                                                  // 000000009A8C: BF8A0000
	ds_read_b32 v64, v7 offset:16896                           // 000000009A90: D86C4200 40000007
	ds_read_b32 v65, v7 offset:16960                           // 000000009A98: D86C4240 41000007
	ds_read_b32 v66, v7 offset:17024                           // 000000009AA0: D86C4280 42000007
	ds_read_b32 v67, v7 offset:17088                           // 000000009AA8: D86C42C0 43000007
	ds_read_b32 v68, v7 offset:17152                           // 000000009AB0: D86C4300 44000007
	ds_read_b32 v69, v7 offset:17216                           // 000000009AB8: D86C4340 45000007
	ds_read_b32 v70, v7 offset:17280                           // 000000009AC0: D86C4380 46000007
	ds_read_b32 v71, v7 offset:17344                           // 000000009AC8: D86C43C0 47000007
	ds_read_b32 v72, v7 offset:17408                           // 000000009AD0: D86C4400 48000007
	ds_read_b32 v73, v7 offset:17472                           // 000000009AD8: D86C4440 49000007
	ds_read_b32 v74, v7 offset:17536                           // 000000009AE0: D86C4480 4A000007
	ds_read_b32 v75, v7 offset:17600                           // 000000009AE8: D86C44C0 4B000007
	ds_read_b32 v76, v7 offset:17664                           // 000000009AF0: D86C4500 4C000007
	ds_read_b32 v77, v7 offset:17728                           // 000000009AF8: D86C4540 4D000007
	ds_read_b32 v78, v7 offset:17792                           // 000000009B00: D86C4580 4E000007
	ds_read_b32 v79, v7 offset:17856                           // 000000009B08: D86C45C0 4F000007
	buffer_load_dwordx4 a[28:31], v25, s[16:19], 0 offen offset:1024// 000000009B10: E05C1400 80841C19
	v_cvt_f32_i32_e32 v176, v176                               // 000000009B18: 7F600BB0
	v_cvt_f32_i32_e32 v177, v177                               // 000000009B1C: 7F620BB1
	v_cvt_f32_i32_e32 v178, v178                               // 000000009B20: 7F640BB2
	v_cvt_f32_i32_e32 v179, v179                               // 000000009B24: 7F660BB3
	v_cvt_f32_i32_e32 v180, v180                               // 000000009B28: 7F680BB4
	v_cvt_f32_i32_e32 v181, v181                               // 000000009B2C: 7F6A0BB5
	v_cvt_f32_i32_e32 v182, v182                               // 000000009B30: 7F6C0BB6
	v_cvt_f32_i32_e32 v183, v183                               // 000000009B34: 7F6E0BB7
	v_mul_f32_e32 v176, v44, v176                              // 000000009B38: 0B61612C
	v_mul_f32_e32 v177, v44, v177                              // 000000009B3C: 0B63632C
	v_mul_f32_e32 v178, v44, v178                              // 000000009B40: 0B65652C
	v_mul_f32_e32 v179, v44, v179                              // 000000009B44: 0B67672C
	v_mul_f32_e32 v180, v44, v180                              // 000000009B48: 0B69692C
	v_mul_f32_e32 v181, v44, v181                              // 000000009B4C: 0B6B6B2C
	v_mul_f32_e32 v182, v44, v182                              // 000000009B50: 0B6D6D2C
	v_mul_f32_e32 v183, v44, v183                              // 000000009B54: 0B6F6F2C
	s_waitcnt lgkmcnt(0)                                       // 000000009B58: BF8CC07F
	v_max3_f32 v48, v64, v65, v48                              // 000000009B5C: D1D30030 04C28340
	v_max3_f32 v48, v66, v67, v48                              // 000000009B64: D1D30030 04C28742
	v_max3_f32 v48, v68, v69, v48                              // 000000009B6C: D1D30030 04C28B44
	v_max3_f32 v48, v70, v71, v48                              // 000000009B74: D1D30030 04C28F46
	v_max3_f32 v48, v72, v73, v48                              // 000000009B7C: D1D30030 04C29348
	v_max3_f32 v48, v74, v75, v48                              // 000000009B84: D1D30030 04C2974A
	v_max3_f32 v48, v76, v77, v48                              // 000000009B8C: D1D30030 04C29B4C
	v_max3_f32 v48, v78, v79, v48                              // 000000009B94: D1D30030 04C29F4E
	buffer_load_dwordx4 a[64:67], v30, s[20:23], 0 offen       // 000000009B9C: E05C1000 8085401E
	v_mov_b32_e32 v64, 0xff800000                              // 000000009BA4: 7E8002FF FF800000
	v_cmp_eq_u32_e64 s[40:41], v64, v11                        // 000000009BAC: D0CA0028 00021740
	s_nop 1                                                    // 000000009BB4: BF800001
	v_max_f32_e32 v15, v48, v11                                // 000000009BB8: 161E1730
	v_mul_f32_e32 v53, s64, v15                                // 000000009BBC: 0A6A1E40
	v_fma_f32 v112, v112, s64, -v53                            // 000000009BC0: D1CB0070 84D48170
	v_fma_f32 v113, v113, s64, -v53                            // 000000009BC8: D1CB0071 84D48171
	v_fma_f32 v114, v114, s64, -v53                            // 000000009BD0: D1CB0072 84D48172
	v_fma_f32 v115, v115, s64, -v53                            // 000000009BD8: D1CB0073 84D48173
	v_fma_f32 v116, v116, s64, -v53                            // 000000009BE0: D1CB0074 84D48174
	v_fma_f32 v117, v117, s64, -v53                            // 000000009BE8: D1CB0075 84D48175
	v_fma_f32 v118, v118, s64, -v53                            // 000000009BF0: D1CB0076 84D48176
	v_fma_f32 v119, v119, s64, -v53                            // 000000009BF8: D1CB0077 84D48177
	v_fma_f32 v120, v120, s64, -v53                            // 000000009C00: D1CB0078 84D48178
	v_fma_f32 v121, v121, s64, -v53                            // 000000009C08: D1CB0079 84D48179
	v_fma_f32 v122, v122, s64, -v53                            // 000000009C10: D1CB007A 84D4817A
	v_fma_f32 v123, v123, s64, -v53                            // 000000009C18: D1CB007B 84D4817B
	v_fma_f32 v124, v124, s64, -v53                            // 000000009C20: D1CB007C 84D4817C
	v_fma_f32 v125, v125, s64, -v53                            // 000000009C28: D1CB007D 84D4817D
	v_fma_f32 v126, v126, s64, -v53                            // 000000009C30: D1CB007E 84D4817E
	v_fma_f32 v127, v127, s64, -v53                            // 000000009C38: D1CB007F 84D4817F
	buffer_load_dwordx4 a[68:71], v31, s[20:23], 0 offen       // 000000009C40: E05C1000 8085441F
	v_exp_f32_e32 v112, v112                                   // 000000009C48: 7EE04170
	v_exp_f32_e32 v113, v113                                   // 000000009C4C: 7EE24171
	v_exp_f32_e32 v114, v114                                   // 000000009C50: 7EE44172
	v_exp_f32_e32 v115, v115                                   // 000000009C54: 7EE64173
	v_exp_f32_e32 v116, v116                                   // 000000009C58: 7EE84174
	v_exp_f32_e32 v117, v117                                   // 000000009C5C: 7EEA4175
	v_exp_f32_e32 v118, v118                                   // 000000009C60: 7EEC4176
	v_exp_f32_e32 v119, v119                                   // 000000009C64: 7EEE4177
	v_exp_f32_e32 v120, v120                                   // 000000009C68: 7EF04178
	v_exp_f32_e32 v121, v121                                   // 000000009C6C: 7EF24179
	v_exp_f32_e32 v122, v122                                   // 000000009C70: 7EF4417A
	v_exp_f32_e32 v123, v123                                   // 000000009C74: 7EF6417B
	v_exp_f32_e32 v124, v124                                   // 000000009C78: 7EF8417C
	v_exp_f32_e32 v125, v125                                   // 000000009C7C: 7EFA417D
	v_exp_f32_e32 v126, v126                                   // 000000009C80: 7EFC417E
	v_exp_f32_e32 v127, v127                                   // 000000009C84: 7EFE417F
	buffer_load_dwordx4 a[72:75], v32, s[20:23], 0 offen       // 000000009C88: E05C1000 80854820
	v_mul_f32_dpp v240, v252, v112 quad_perm:[0,0,0,0] row_mask:0xf bank_mask:0xf// 000000009C90: 0BE0E0FA FF0000FC
	v_mul_f32_dpp v241, v252, v113 quad_perm:[1,1,1,1] row_mask:0xf bank_mask:0xf// 000000009C98: 0BE2E2FA FF0055FC
	v_mul_f32_dpp v242, v252, v114 quad_perm:[2,2,2,2] row_mask:0xf bank_mask:0xf// 000000009CA0: 0BE4E4FA FF00AAFC
	v_mul_f32_dpp v243, v252, v115 quad_perm:[3,3,3,3] row_mask:0xf bank_mask:0xf// 000000009CA8: 0BE6E6FA FF00FFFC
	v_mul_f32_dpp v244, v253, v116 quad_perm:[0,0,0,0] row_mask:0xf bank_mask:0xf// 000000009CB0: 0BE8E8FA FF0000FD
	v_mul_f32_dpp v245, v253, v117 quad_perm:[1,1,1,1] row_mask:0xf bank_mask:0xf// 000000009CB8: 0BEAEAFA FF0055FD
	v_mul_f32_dpp v246, v253, v118 quad_perm:[2,2,2,2] row_mask:0xf bank_mask:0xf// 000000009CC0: 0BECECFA FF00AAFD
	v_mul_f32_dpp v247, v253, v119 quad_perm:[3,3,3,3] row_mask:0xf bank_mask:0xf// 000000009CC8: 0BEEEEFA FF00FFFD
	v_mul_f32_dpp v248, v254, v120 quad_perm:[0,0,0,0] row_mask:0xf bank_mask:0xf// 000000009CD0: 0BF0F0FA FF0000FE
	v_mul_f32_dpp v249, v254, v121 quad_perm:[1,1,1,1] row_mask:0xf bank_mask:0xf// 000000009CD8: 0BF2F2FA FF0055FE
	v_mul_f32_dpp v250, v254, v122 quad_perm:[2,2,2,2] row_mask:0xf bank_mask:0xf// 000000009CE0: 0BF4F4FA FF00AAFE
	v_mul_f32_dpp v251, v254, v123 quad_perm:[3,3,3,3] row_mask:0xf bank_mask:0xf// 000000009CE8: 0BF6F6FA FF00FFFE
	v_mul_f32_dpp v252, v255, v124 quad_perm:[0,0,0,0] row_mask:0xf bank_mask:0xf// 000000009CF0: 0BF8F8FA FF0000FF
	v_mul_f32_dpp v253, v255, v125 quad_perm:[1,1,1,1] row_mask:0xf bank_mask:0xf// 000000009CF8: 0BFAFAFA FF0055FF
	v_mul_f32_dpp v254, v255, v126 quad_perm:[2,2,2,2] row_mask:0xf bank_mask:0xf// 000000009D00: 0BFCFCFA FF00AAFF
	v_mul_f32_dpp v255, v255, v127 quad_perm:[3,3,3,3] row_mask:0xf bank_mask:0xf// 000000009D08: 0BFEFEFA FF00FFFF
	v_mov_b32_e32 v48, 0x358637bd                              // 000000009D10: 7E6002FF 358637BD
	v_max3_f32 v48, |v240|, |v241|, v48                        // 000000009D18: D1D30330 04C3E3F0
	v_max3_f32 v48, |v242|, |v243|, v48                        // 000000009D20: D1D30330 04C3E7F2
	v_max3_f32 v48, |v244|, |v245|, v48                        // 000000009D28: D1D30330 04C3EBF4
	v_max3_f32 v48, |v246|, |v247|, v48                        // 000000009D30: D1D30330 04C3EFF6
	v_max3_f32 v48, |v248|, |v249|, v48                        // 000000009D38: D1D30330 04C3F3F8
	v_max3_f32 v48, |v250|, |v251|, v48                        // 000000009D40: D1D30330 04C3F7FA
	v_max3_f32 v48, |v252|, |v253|, v48                        // 000000009D48: D1D30330 04C3FBFC
	v_max3_f32 v48, |v254|, |v255|, v48                        // 000000009D50: D1D30330 04C3FFFE
	buffer_load_dwordx4 a[76:79], v33, s[20:23], 0 offen       // 000000009D58: E05C1000 80854C21
	ds_write_b32 v8, v48 offset:20992                          // 000000009D60: D81A5200 00003008
	v_sub_f32_e32 v49, v11, v15                                // 000000009D68: 04621F0B
	v_cndmask_b32_e64 v49, v49, 0, s[40:41]                    // 000000009D6C: D1000031 00A10131
	v_mov_b32_e32 v11, v15                                     // 000000009D74: 7E16030F
	v_mul_f32_e32 v49, s64, v49                                // 000000009D78: 0A626240
	v_exp_f32_e32 v49, v49                                     // 000000009D7C: 7E624131
	s_waitcnt lgkmcnt(0)                                       // 000000009D80: BF8CC07F
	s_barrier                                                  // 000000009D84: BF8A0000
	ds_read_b32 v64, v7 offset:20992                           // 000000009D88: D86C5200 40000007
	ds_read_b32 v65, v7 offset:21056                           // 000000009D90: D86C5240 41000007
	ds_read_b32 v66, v7 offset:21120                           // 000000009D98: D86C5280 42000007
	ds_read_b32 v67, v7 offset:21184                           // 000000009DA0: D86C52C0 43000007
	ds_read_b32 v68, v7 offset:21248                           // 000000009DA8: D86C5300 44000007
	ds_read_b32 v69, v7 offset:21312                           // 000000009DB0: D86C5340 45000007
	ds_read_b32 v70, v7 offset:21376                           // 000000009DB8: D86C5380 46000007
	ds_read_b32 v71, v7 offset:21440                           // 000000009DC0: D86C53C0 47000007
	ds_read_b32 v72, v7 offset:21504                           // 000000009DC8: D86C5400 48000007
	ds_read_b32 v73, v7 offset:21568                           // 000000009DD0: D86C5440 49000007
	ds_read_b32 v74, v7 offset:21632                           // 000000009DD8: D86C5480 4A000007
	ds_read_b32 v75, v7 offset:21696                           // 000000009DE0: D86C54C0 4B000007
	ds_read_b32 v76, v7 offset:21760                           // 000000009DE8: D86C5500 4C000007
	ds_read_b32 v77, v7 offset:21824                           // 000000009DF0: D86C5540 4D000007
	ds_read_b32 v78, v7 offset:21888                           // 000000009DF8: D86C5580 4E000007
	ds_read_b32 v79, v7 offset:21952                           // 000000009E00: D86C55C0 4F000007
	v_mul_f32_e32 v38, v49, v38                                // 000000009E08: 0A4C4D31
	v_mov_b32_e32 v15, v112                                    // 000000009E0C: 7E1E0370
	v_add_f32_e32 v15, v113, v15                               // 000000009E10: 021E1F71
	v_add_f32_e32 v15, v114, v15                               // 000000009E14: 021E1F72
	v_add_f32_e32 v15, v115, v15                               // 000000009E18: 021E1F73
	v_add_f32_e32 v15, v116, v15                               // 000000009E1C: 021E1F74
	v_add_f32_e32 v15, v117, v15                               // 000000009E20: 021E1F75
	v_add_f32_e32 v15, v118, v15                               // 000000009E24: 021E1F76
	v_add_f32_e32 v15, v119, v15                               // 000000009E28: 021E1F77
	v_add_f32_e32 v15, v120, v15                               // 000000009E2C: 021E1F78
	v_add_f32_e32 v15, v121, v15                               // 000000009E30: 021E1F79
	v_add_f32_e32 v15, v122, v15                               // 000000009E34: 021E1F7A
	v_add_f32_e32 v15, v123, v15                               // 000000009E38: 021E1F7B
	v_add_f32_e32 v15, v124, v15                               // 000000009E3C: 021E1F7C
	v_add_f32_e32 v15, v125, v15                               // 000000009E40: 021E1F7D
	v_add_f32_e32 v15, v126, v15                               // 000000009E44: 021E1F7E
	v_add_f32_e32 v15, v127, v15                               // 000000009E48: 021E1F7F
	v_add_f32_e32 v38, v15, v38                                // 000000009E4C: 024C4D0F
	s_waitcnt lgkmcnt(0)                                       // 000000009E50: BF8CC07F
	v_max3_f32 v48, |v64|, |v65|, v48                          // 000000009E54: D1D30330 04C28340
	v_max3_f32 v48, |v66|, |v67|, v48                          // 000000009E5C: D1D30330 04C28742
	v_max3_f32 v48, |v68|, |v69|, v48                          // 000000009E64: D1D30330 04C28B44
	v_max3_f32 v48, |v70|, |v71|, v48                          // 000000009E6C: D1D30330 04C28F46
	v_max3_f32 v48, |v72|, |v73|, v48                          // 000000009E74: D1D30330 04C29348
	v_max3_f32 v48, |v74|, |v75|, v48                          // 000000009E7C: D1D30330 04C2974A
	v_max3_f32 v48, |v76|, |v77|, v48                          // 000000009E84: D1D30330 04C29B4C
	v_max3_f32 v48, |v78|, |v79|, v48                          // 000000009E8C: D1D30330 04C29F4E
	s_nop 2                                                    // 000000009E94: BF800002
	v_rcp_f32_e32 v48, v48                                     // 000000009E98: 7E604530
	s_nop 1                                                    // 000000009E9C: BF800001
	v_mul_f32_e32 v48, 0x42fe0000, v48                         // 000000009EA0: 0A6060FF 42FE0000
	v_mul_f32_e32 v112, v48, v240                              // 000000009EA8: 0AE1E130
	v_mul_f32_e32 v113, v48, v241                              // 000000009EAC: 0AE3E330
	v_mul_f32_e32 v114, v48, v242                              // 000000009EB0: 0AE5E530
	v_mul_f32_e32 v115, v48, v243                              // 000000009EB4: 0AE7E730
	v_mul_f32_e32 v116, v48, v244                              // 000000009EB8: 0AE9E930
	v_mul_f32_e32 v117, v48, v245                              // 000000009EBC: 0AEBEB30
	v_mul_f32_e32 v118, v48, v246                              // 000000009EC0: 0AEDED30
	v_mul_f32_e32 v119, v48, v247                              // 000000009EC4: 0AEFEF30
	v_mul_f32_e32 v120, v48, v248                              // 000000009EC8: 0AF1F130
	v_mul_f32_e32 v121, v48, v249                              // 000000009ECC: 0AF3F330
	v_mul_f32_e32 v122, v48, v250                              // 000000009ED0: 0AF5F530
	v_mul_f32_e32 v123, v48, v251                              // 000000009ED4: 0AF7F730
	v_mul_f32_e32 v124, v48, v252                              // 000000009ED8: 0AF9F930
	v_mul_f32_e32 v125, v48, v253                              // 000000009EDC: 0AFBFB30
	v_mul_f32_e32 v126, v48, v254                              // 000000009EE0: 0AFDFD30
	v_mul_f32_e32 v127, v48, v255                              // 000000009EE4: 0AFFFF30
	v_cvt_i32_f32_e32 v112, v112                               // 000000009EE8: 7EE01170
	v_cvt_i32_f32_e32 v113, v113                               // 000000009EEC: 7EE21171
	v_cvt_i32_f32_e32 v114, v114                               // 000000009EF0: 7EE41172
	v_cvt_i32_f32_e32 v115, v115                               // 000000009EF4: 7EE61173
	v_cvt_i32_f32_e32 v116, v116                               // 000000009EF8: 7EE81174
	v_cvt_i32_f32_e32 v117, v117                               // 000000009EFC: 7EEA1175
	v_cvt_i32_f32_e32 v118, v118                               // 000000009F00: 7EEC1176
	v_cvt_i32_f32_e32 v119, v119                               // 000000009F04: 7EEE1177
	v_cvt_i32_f32_e32 v120, v120                               // 000000009F08: 7EF01178
	v_cvt_i32_f32_e32 v121, v121                               // 000000009F0C: 7EF21179
	v_cvt_i32_f32_e32 v122, v122                               // 000000009F10: 7EF4117A
	v_cvt_i32_f32_e32 v123, v123                               // 000000009F14: 7EF6117B
	v_cvt_i32_f32_e32 v124, v124                               // 000000009F18: 7EF8117C
	v_cvt_i32_f32_e32 v125, v125                               // 000000009F1C: 7EFA117D
	v_cvt_i32_f32_e32 v126, v126                               // 000000009F20: 7EFC117E
	v_cvt_i32_f32_e32 v127, v127                               // 000000009F24: 7EFE117F
	v_perm_b32 v112, v113, v112, s53                           // 000000009F28: D1ED0070 00D6E171
	v_perm_b32 v112, v114, v112, s54                           // 000000009F30: D1ED0070 00DAE172
	v_perm_b32 v112, v115, v112, s55                           // 000000009F38: D1ED0070 00DEE173
	v_perm_b32 v113, v117, v116, s53                           // 000000009F40: D1ED0071 00D6E975
	v_perm_b32 v113, v118, v113, s54                           // 000000009F48: D1ED0071 00DAE376
	v_perm_b32 v113, v119, v113, s55                           // 000000009F50: D1ED0071 00DEE377
	v_perm_b32 v114, v121, v120, s53                           // 000000009F58: D1ED0072 00D6F179
	v_perm_b32 v114, v122, v114, s54                           // 000000009F60: D1ED0072 00DAE57A
	v_perm_b32 v114, v123, v114, s55                           // 000000009F68: D1ED0072 00DEE57B
	v_perm_b32 v115, v125, v124, s53                           // 000000009F70: D1ED0073 00D6F97D
	v_perm_b32 v115, v126, v115, s54                           // 000000009F78: D1ED0073 00DAE77E
	v_perm_b32 v115, v127, v115, s55                           // 000000009F80: D1ED0073 00DEE77F
	ds_write_b32 v10, v112 offset:25088                        // 000000009F88: D81A6200 0000700A
	ds_write_b32 v10, v113 offset:26112                        // 000000009F90: D81A6600 0000710A
	ds_write_b32 v10, v114 offset:27136                        // 000000009F98: D81A6A00 0000720A
	ds_write_b32 v10, v115 offset:28160                        // 000000009FA0: D81A6E00 0000730A
	v_add_f32_e32 v208, v208, v176                             // 000000009FA8: 03A161D0
	v_add_f32_e32 v209, v209, v177                             // 000000009FAC: 03A363D1
	v_add_f32_e32 v210, v210, v178                             // 000000009FB0: 03A565D2
	v_add_f32_e32 v211, v211, v179                             // 000000009FB4: 03A767D3
	v_add_f32_e32 v212, v212, v180                             // 000000009FB8: 03A969D4
	v_add_f32_e32 v213, v213, v181                             // 000000009FBC: 03AB6BD5
	v_add_f32_e32 v214, v214, v182                             // 000000009FC0: 03AD6DD6
	v_add_f32_e32 v215, v215, v183                             // 000000009FC4: 03AF6FD7
	v_rcp_f32_e32 v44, v48                                     // 000000009FC8: 7E584530
	s_waitcnt lgkmcnt(0)                                       // 000000009FCC: BF8CC07F
	s_barrier                                                  // 000000009FD0: BF8A0000
	ds_read_b64 v[112:113], v9 offset:25088                    // 000000009FD4: D8EC6200 70000009
	ds_read_b64 v[114:115], v9 offset:25216                    // 000000009FDC: D8EC6280 72000009
	ds_read_b64 v[116:117], v9 offset:26112                    // 000000009FE4: D8EC6600 74000009
	ds_read_b64 v[118:119], v9 offset:26240                    // 000000009FEC: D8EC6680 76000009
	ds_read_b64 v[120:121], v9 offset:27136                    // 000000009FF4: D8EC6A00 78000009
	ds_read_b64 v[122:123], v9 offset:27264                    // 000000009FFC: D8EC6A80 7A000009
	ds_read_b64 v[124:125], v9 offset:28160                    // 00000000A004: D8EC6E00 7C000009
	ds_read_b64 v[126:127], v9 offset:28288                    // 00000000A00C: D8EC6E80 7E000009
	v_mov_b32_dpp v64, v43 row_shr:4 row_mask:0xf bank_mask:0xf// 00000000A014: 7E8002FA FF01142B
	v_mov_b32_dpp v65, v43 row_shl:4 row_mask:0xf bank_mask:0xf// 00000000A01C: 7E8202FA FF01042B
	v_cndmask_b32_e64 v248, v43, v64, s[44:45]                 // 00000000A024: D10000F8 00B2812B
	v_cndmask_b32_e64 v249, v65, v43, s[44:45]                 // 00000000A02C: D10000F9 00B25741
	v_mov_b32_dpp v64, v248 row_shr:8 row_mask:0xf bank_mask:0xf// 00000000A034: 7E8002FA FF0118F8
	v_mov_b32_dpp v65, v248 row_shl:8 row_mask:0xf bank_mask:0xf// 00000000A03C: 7E8202FA FF0108F8
	v_mov_b32_dpp v66, v249 row_shr:8 row_mask:0xf bank_mask:0xf// 00000000A044: 7E8402FA FF0118F9
	v_mov_b32_dpp v67, v249 row_shl:8 row_mask:0xf bank_mask:0xf// 00000000A04C: 7E8602FA FF0108F9
	v_mov_b32_e32 v68, v248                                    // 00000000A054: 7E8803F8
	v_mov_b32_e32 v69, v249                                    // 00000000A058: 7E8A03F9
	v_cndmask_b32_e64 v248, v68, v64, s[42:43]                 // 00000000A05C: D10000F8 00AA8144
	v_cndmask_b32_e64 v250, v68, v65, s[78:79]                 // 00000000A064: D10000FA 013A8344
	v_cndmask_b32_e64 v249, v69, v66, s[42:43]                 // 00000000A06C: D10000F9 00AA8545
	v_cndmask_b32_e64 v251, v69, v67, s[78:79]                 // 00000000A074: D10000FB 013A8745
	v_mov_b32_dpp v64, v58 row_shr:4 row_mask:0xf bank_mask:0xf// 00000000A07C: 7E8002FA FF01143A
	v_mov_b32_dpp v65, v58 row_shl:4 row_mask:0xf bank_mask:0xf// 00000000A084: 7E8202FA FF01043A
	v_cndmask_b32_e64 v252, v58, v64, s[44:45]                 // 00000000A08C: D10000FC 00B2813A
	v_cndmask_b32_e64 v253, v65, v58, s[44:45]                 // 00000000A094: D10000FD 00B27541
	v_mov_b32_dpp v64, v252 row_shr:8 row_mask:0xf bank_mask:0xf// 00000000A09C: 7E8002FA FF0118FC
	v_mov_b32_dpp v65, v252 row_shl:8 row_mask:0xf bank_mask:0xf// 00000000A0A4: 7E8202FA FF0108FC
	v_mov_b32_dpp v66, v253 row_shr:8 row_mask:0xf bank_mask:0xf// 00000000A0AC: 7E8402FA FF0118FD
	v_mov_b32_dpp v67, v253 row_shl:8 row_mask:0xf bank_mask:0xf// 00000000A0B4: 7E8602FA FF0108FD
	v_mov_b32_e32 v68, v252                                    // 00000000A0BC: 7E8803FC
	v_mov_b32_e32 v69, v253                                    // 00000000A0C0: 7E8A03FD
	v_cndmask_b32_e64 v252, v68, v64, s[42:43]                 // 00000000A0C4: D10000FC 00AA8144
	v_cndmask_b32_e64 v254, v68, v65, s[78:79]                 // 00000000A0CC: D10000FE 013A8344
	v_cndmask_b32_e64 v253, v69, v66, s[42:43]                 // 00000000A0D4: D10000FD 00AA8545
	v_cndmask_b32_e64 v255, v69, v67, s[78:79]                 // 00000000A0DC: D10000FF 013A8745
	v_cvt_f32_i32_e32 v128, v128                               // 00000000A0E4: 7F000B80
	v_cvt_f32_i32_e32 v129, v129                               // 00000000A0E8: 7F020B81
	v_cvt_f32_i32_e32 v130, v130                               // 00000000A0EC: 7F040B82
	v_cvt_f32_i32_e32 v131, v131                               // 00000000A0F0: 7F060B83
	v_cvt_f32_i32_e32 v132, v132                               // 00000000A0F4: 7F080B84
	v_cvt_f32_i32_e32 v133, v133                               // 00000000A0F8: 7F0A0B85
	v_cvt_f32_i32_e32 v134, v134                               // 00000000A0FC: 7F0C0B86
	v_cvt_f32_i32_e32 v135, v135                               // 00000000A100: 7F0E0B87
	v_cvt_f32_i32_e32 v136, v136                               // 00000000A104: 7F100B88
	v_cvt_f32_i32_e32 v137, v137                               // 00000000A108: 7F120B89
	v_cvt_f32_i32_e32 v138, v138                               // 00000000A10C: 7F140B8A
	v_cvt_f32_i32_e32 v139, v139                               // 00000000A110: 7F160B8B
	v_cvt_f32_i32_e32 v140, v140                               // 00000000A114: 7F180B8C
	v_cvt_f32_i32_e32 v141, v141                               // 00000000A118: 7F1A0B8D
	v_cvt_f32_i32_e32 v142, v142                               // 00000000A11C: 7F1C0B8E
	v_cvt_f32_i32_e32 v143, v143                               // 00000000A120: 7F1E0B8F
	v_mul_f32_e32 v128, v19, v128                              // 00000000A124: 0B010113
	v_mul_f32_e32 v129, v19, v129                              // 00000000A128: 0B030313
	v_mul_f32_e32 v130, v19, v130                              // 00000000A12C: 0B050513
	v_mul_f32_e32 v131, v19, v131                              // 00000000A130: 0B070713
	v_mul_f32_e32 v132, v19, v132                              // 00000000A134: 0B090913
	v_mul_f32_e32 v133, v19, v133                              // 00000000A138: 0B0B0B13
	v_mul_f32_e32 v134, v19, v134                              // 00000000A13C: 0B0D0D13
	v_mul_f32_e32 v135, v19, v135                              // 00000000A140: 0B0F0F13
	v_mul_f32_e32 v136, v19, v136                              // 00000000A144: 0B111113
	v_mul_f32_e32 v137, v19, v137                              // 00000000A148: 0B131313
	v_mul_f32_e32 v138, v19, v138                              // 00000000A14C: 0B151513
	v_mul_f32_e32 v139, v19, v139                              // 00000000A150: 0B171713
	v_mul_f32_e32 v140, v19, v140                              // 00000000A154: 0B191913
	v_mul_f32_e32 v141, v19, v141                              // 00000000A158: 0B1B1B13
	v_mul_f32_e32 v142, v19, v142                              // 00000000A15C: 0B1D1D13
	v_mul_f32_e32 v143, v19, v143                              // 00000000A160: 0B1F1F13
	v_mul_f32_dpp v128, v248, v128 quad_perm:[0,0,0,0] row_mask:0xf bank_mask:0xf// 00000000A164: 0B0100FA FF0000F8
	v_mul_f32_dpp v129, v248, v129 quad_perm:[1,1,1,1] row_mask:0xf bank_mask:0xf// 00000000A16C: 0B0302FA FF0055F8
	v_mul_f32_dpp v130, v248, v130 quad_perm:[2,2,2,2] row_mask:0xf bank_mask:0xf// 00000000A174: 0B0504FA FF00AAF8
	v_mul_f32_dpp v131, v248, v131 quad_perm:[3,3,3,3] row_mask:0xf bank_mask:0xf// 00000000A17C: 0B0706FA FF00FFF8
	v_mul_f32_dpp v132, v249, v132 quad_perm:[0,0,0,0] row_mask:0xf bank_mask:0xf// 00000000A184: 0B0908FA FF0000F9
	v_mul_f32_dpp v133, v249, v133 quad_perm:[1,1,1,1] row_mask:0xf bank_mask:0xf// 00000000A18C: 0B0B0AFA FF0055F9
	v_mul_f32_dpp v134, v249, v134 quad_perm:[2,2,2,2] row_mask:0xf bank_mask:0xf// 00000000A194: 0B0D0CFA FF00AAF9
	v_mul_f32_dpp v135, v249, v135 quad_perm:[3,3,3,3] row_mask:0xf bank_mask:0xf// 00000000A19C: 0B0F0EFA FF00FFF9
	v_mul_f32_dpp v136, v250, v136 quad_perm:[0,0,0,0] row_mask:0xf bank_mask:0xf// 00000000A1A4: 0B1110FA FF0000FA
	v_mul_f32_dpp v137, v250, v137 quad_perm:[1,1,1,1] row_mask:0xf bank_mask:0xf// 00000000A1AC: 0B1312FA FF0055FA
	v_mul_f32_dpp v138, v250, v138 quad_perm:[2,2,2,2] row_mask:0xf bank_mask:0xf// 00000000A1B4: 0B1514FA FF00AAFA
	v_mul_f32_dpp v139, v250, v139 quad_perm:[3,3,3,3] row_mask:0xf bank_mask:0xf// 00000000A1BC: 0B1716FA FF00FFFA
	v_mul_f32_dpp v140, v251, v140 quad_perm:[0,0,0,0] row_mask:0xf bank_mask:0xf// 00000000A1C4: 0B1918FA FF0000FB
	v_mul_f32_dpp v141, v251, v141 quad_perm:[1,1,1,1] row_mask:0xf bank_mask:0xf// 00000000A1CC: 0B1B1AFA FF0055FB
	v_mul_f32_dpp v142, v251, v142 quad_perm:[2,2,2,2] row_mask:0xf bank_mask:0xf// 00000000A1D4: 0B1D1CFA FF00AAFB
	v_mul_f32_dpp v143, v251, v143 quad_perm:[3,3,3,3] row_mask:0xf bank_mask:0xf// 00000000A1DC: 0B1F1EFA FF00FFFB
	s_cmp_le_i32 s90, s89                                      // 00000000A1E4: BF05595A
	s_cbranch_scc1 label_206C                                  // 00000000A1E8: BF850071
	v_mov_b32_e32 v66, 0xff800000                              // 00000000A1EC: 7E8402FF FF800000
	s_mov_b32 s60, s90                                         // 00000000A1F4: BEBC005A
	s_add_u32 s61, s89, 0xff                                   // 00000000A1F8: 803DFF59 000000FF
	v_mov_b32_e32 v64, s61                                     // 00000000A200: 7E80023D
	v_lshrrev_b32_e32 v240, 4, v0                              // 00000000A204: 21E00084
	v_mul_i32_i24_e32 v240, 4, v240                            // 00000000A208: 0DE1E084
	v_add_u32_e32 v240, s60, v240                              // 00000000A20C: 69E1E03C
	s_mov_b32 s61, 1                                           // 00000000A210: BEBD0081
	s_mul_i32 s60, 16, s7                                      // 00000000A214: 923C0790
	v_sub_u32_e64 v240, v240, s61                              // 00000000A218: D13500F0 00007BF0
	v_add_u32_e32 v240, s60, v240                              // 00000000A220: 69E1E03C
	v_add_u32_e32 v241, 1, v240                                // 00000000A224: 69E3E081
	v_add_u32_e32 v242, 2, v240                                // 00000000A228: 69E5E082
	v_add_u32_e32 v243, 3, v240                                // 00000000A22C: 69E7E083
	v_cmp_le_u32_e64 s[40:41], v240, v64                       // 00000000A230: D0CB0028 000281F0
	v_add_u32_e32 v240, 64, v240                               // 00000000A238: 69E1E0C0
	s_nop 0                                                    // 00000000A23C: BF800000
	v_cndmask_b32_e64 v128, v66, v128, s[40:41]                // 00000000A240: D1000080 00A30142
	v_cmp_le_u32_e64 s[40:41], v241, v64                       // 00000000A248: D0CB0028 000281F1
	v_add_u32_e32 v241, 64, v241                               // 00000000A250: 69E3E2C0
	s_nop 0                                                    // 00000000A254: BF800000
	v_cndmask_b32_e64 v129, v66, v129, s[40:41]                // 00000000A258: D1000081 00A30342
	v_cmp_le_u32_e64 s[40:41], v242, v64                       // 00000000A260: D0CB0028 000281F2
	v_add_u32_e32 v242, 64, v242                               // 00000000A268: 69E5E4C0
	s_nop 0                                                    // 00000000A26C: BF800000
	v_cndmask_b32_e64 v130, v66, v130, s[40:41]                // 00000000A270: D1000082 00A30542
	v_cmp_le_u32_e64 s[40:41], v243, v64                       // 00000000A278: D0CB0028 000281F3
	v_add_u32_e32 v243, 64, v243                               // 00000000A280: 69E7E6C0
	s_nop 0                                                    // 00000000A284: BF800000
	v_cndmask_b32_e64 v131, v66, v131, s[40:41]                // 00000000A288: D1000083 00A30742
	v_cmp_le_u32_e64 s[40:41], v240, v64                       // 00000000A290: D0CB0028 000281F0
	v_add_u32_e32 v240, 64, v240                               // 00000000A298: 69E1E0C0
	s_nop 0                                                    // 00000000A29C: BF800000
	v_cndmask_b32_e64 v132, v66, v132, s[40:41]                // 00000000A2A0: D1000084 00A30942
	v_cmp_le_u32_e64 s[40:41], v241, v64                       // 00000000A2A8: D0CB0028 000281F1
	v_add_u32_e32 v241, 64, v241                               // 00000000A2B0: 69E3E2C0
	s_nop 0                                                    // 00000000A2B4: BF800000
	v_cndmask_b32_e64 v133, v66, v133, s[40:41]                // 00000000A2B8: D1000085 00A30B42
	v_cmp_le_u32_e64 s[40:41], v242, v64                       // 00000000A2C0: D0CB0028 000281F2
	v_add_u32_e32 v242, 64, v242                               // 00000000A2C8: 69E5E4C0
	s_nop 0                                                    // 00000000A2CC: BF800000
	v_cndmask_b32_e64 v134, v66, v134, s[40:41]                // 00000000A2D0: D1000086 00A30D42
	v_cmp_le_u32_e64 s[40:41], v243, v64                       // 00000000A2D8: D0CB0028 000281F3
	v_add_u32_e32 v243, 64, v243                               // 00000000A2E0: 69E7E6C0
	s_nop 0                                                    // 00000000A2E4: BF800000
	v_cndmask_b32_e64 v135, v66, v135, s[40:41]                // 00000000A2E8: D1000087 00A30F42
	v_cmp_le_u32_e64 s[40:41], v240, v64                       // 00000000A2F0: D0CB0028 000281F0
	v_add_u32_e32 v240, 64, v240                               // 00000000A2F8: 69E1E0C0
	s_nop 0                                                    // 00000000A2FC: BF800000
	v_cndmask_b32_e64 v136, v66, v136, s[40:41]                // 00000000A300: D1000088 00A31142
	v_cmp_le_u32_e64 s[40:41], v241, v64                       // 00000000A308: D0CB0028 000281F1
	v_add_u32_e32 v241, 64, v241                               // 00000000A310: 69E3E2C0
	s_nop 0                                                    // 00000000A314: BF800000
	v_cndmask_b32_e64 v137, v66, v137, s[40:41]                // 00000000A318: D1000089 00A31342
	v_cmp_le_u32_e64 s[40:41], v242, v64                       // 00000000A320: D0CB0028 000281F2
	v_add_u32_e32 v242, 64, v242                               // 00000000A328: 69E5E4C0
	s_nop 0                                                    // 00000000A32C: BF800000
	v_cndmask_b32_e64 v138, v66, v138, s[40:41]                // 00000000A330: D100008A 00A31542
	v_cmp_le_u32_e64 s[40:41], v243, v64                       // 00000000A338: D0CB0028 000281F3
	v_add_u32_e32 v243, 64, v243                               // 00000000A340: 69E7E6C0
	s_nop 0                                                    // 00000000A344: BF800000
	v_cndmask_b32_e64 v139, v66, v139, s[40:41]                // 00000000A348: D100008B 00A31742
	v_cmp_le_u32_e64 s[40:41], v240, v64                       // 00000000A350: D0CB0028 000281F0
	v_add_u32_e32 v240, 64, v240                               // 00000000A358: 69E1E0C0
	s_nop 0                                                    // 00000000A35C: BF800000
	v_cndmask_b32_e64 v140, v66, v140, s[40:41]                // 00000000A360: D100008C 00A31942
	v_cmp_le_u32_e64 s[40:41], v241, v64                       // 00000000A368: D0CB0028 000281F1
	v_add_u32_e32 v241, 64, v241                               // 00000000A370: 69E3E2C0
	s_nop 0                                                    // 00000000A374: BF800000
	v_cndmask_b32_e64 v141, v66, v141, s[40:41]                // 00000000A378: D100008D 00A31B42
	v_cmp_le_u32_e64 s[40:41], v242, v64                       // 00000000A380: D0CB0028 000281F2
	v_add_u32_e32 v242, 64, v242                               // 00000000A388: 69E5E4C0
	s_nop 0                                                    // 00000000A38C: BF800000
	v_cndmask_b32_e64 v142, v66, v142, s[40:41]                // 00000000A390: D100008E 00A31D42
	v_cmp_le_u32_e64 s[40:41], v243, v64                       // 00000000A398: D0CB0028 000281F3
	v_add_u32_e32 v243, 64, v243                               // 00000000A3A0: 69E7E6C0
	s_nop 0                                                    // 00000000A3A4: BF800000
	v_cndmask_b32_e64 v143, v66, v143, s[40:41]                // 00000000A3A8: D100008F 00A31F42

000000000000a3b0 <label_206C>:
	s_add_u32 s90, s91, s90                                    // 00000000A3B0: 805A5A5B
	v_mov_b32_e32 v48, v128                                    // 00000000A3B4: 7E600380
	v_max3_f32 v48, v128, v129, v48                            // 00000000A3B8: D1D30030 04C30380
	v_max3_f32 v48, v130, v131, v48                            // 00000000A3C0: D1D30030 04C30782
	v_max3_f32 v48, v132, v133, v48                            // 00000000A3C8: D1D30030 04C30B84
	v_max3_f32 v48, v134, v135, v48                            // 00000000A3D0: D1D30030 04C30F86
	v_max3_f32 v48, v136, v137, v48                            // 00000000A3D8: D1D30030 04C31388
	v_max3_f32 v48, v138, v139, v48                            // 00000000A3E0: D1D30030 04C3178A
	v_max3_f32 v48, v140, v141, v48                            // 00000000A3E8: D1D30030 04C31B8C
	v_max3_f32 v48, v142, v143, v48                            // 00000000A3F0: D1D30030 04C31F8E
	ds_write_b32 v8, v48 offset:16896                          // 00000000A3F8: D81A4200 00003008
	v_mul_f32_e32 v216, v50, v216                              // 00000000A400: 0BB1B132
	v_mul_f32_e32 v217, v50, v217                              // 00000000A404: 0BB3B332
	v_mul_f32_e32 v218, v50, v218                              // 00000000A408: 0BB5B532
	v_mul_f32_e32 v219, v50, v219                              // 00000000A40C: 0BB7B732
	v_mul_f32_e32 v220, v50, v220                              // 00000000A410: 0BB9B932
	v_mul_f32_e32 v221, v50, v221                              // 00000000A414: 0BBBBB32
	v_mul_f32_e32 v222, v50, v222                              // 00000000A418: 0BBDBD32
	v_mul_f32_e32 v223, v50, v223                              // 00000000A41C: 0BBFBF32
	s_waitcnt lgkmcnt(0)                                       // 00000000A420: BF8CC07F
	s_barrier                                                  // 00000000A424: BF8A0000
	ds_read_b32 v64, v7 offset:16896                           // 00000000A428: D86C4200 40000007
	ds_read_b32 v65, v7 offset:16960                           // 00000000A430: D86C4240 41000007
	ds_read_b32 v66, v7 offset:17024                           // 00000000A438: D86C4280 42000007
	ds_read_b32 v67, v7 offset:17088                           // 00000000A440: D86C42C0 43000007
	ds_read_b32 v68, v7 offset:17152                           // 00000000A448: D86C4300 44000007
	ds_read_b32 v69, v7 offset:17216                           // 00000000A450: D86C4340 45000007
	ds_read_b32 v70, v7 offset:17280                           // 00000000A458: D86C4380 46000007
	ds_read_b32 v71, v7 offset:17344                           // 00000000A460: D86C43C0 47000007
	ds_read_b32 v72, v7 offset:17408                           // 00000000A468: D86C4400 48000007
	ds_read_b32 v73, v7 offset:17472                           // 00000000A470: D86C4440 49000007
	ds_read_b32 v74, v7 offset:17536                           // 00000000A478: D86C4480 4A000007
	ds_read_b32 v75, v7 offset:17600                           // 00000000A480: D86C44C0 4B000007
	ds_read_b32 v76, v7 offset:17664                           // 00000000A488: D86C4500 4C000007
	ds_read_b32 v77, v7 offset:17728                           // 00000000A490: D86C4540 4D000007
	ds_read_b32 v78, v7 offset:17792                           // 00000000A498: D86C4580 4E000007
	ds_read_b32 v79, v7 offset:17856                           // 00000000A4A0: D86C45C0 4F000007
	v_cvt_f32_i32_e32 v184, v184                               // 00000000A4A8: 7F700BB8
	v_cvt_f32_i32_e32 v185, v185                               // 00000000A4AC: 7F720BB9
	v_cvt_f32_i32_e32 v186, v186                               // 00000000A4B0: 7F740BBA
	v_cvt_f32_i32_e32 v187, v187                               // 00000000A4B4: 7F760BBB
	v_cvt_f32_i32_e32 v188, v188                               // 00000000A4B8: 7F780BBC
	v_cvt_f32_i32_e32 v189, v189                               // 00000000A4BC: 7F7A0BBD
	v_cvt_f32_i32_e32 v190, v190                               // 00000000A4C0: 7F7C0BBE
	v_cvt_f32_i32_e32 v191, v191                               // 00000000A4C4: 7F7E0BBF
	v_mul_f32_e32 v184, v45, v184                              // 00000000A4C8: 0B71712D
	v_mul_f32_e32 v185, v45, v185                              // 00000000A4CC: 0B73732D
	v_mul_f32_e32 v186, v45, v186                              // 00000000A4D0: 0B75752D
	v_mul_f32_e32 v187, v45, v187                              // 00000000A4D4: 0B77772D
	v_mul_f32_e32 v188, v45, v188                              // 00000000A4D8: 0B79792D
	v_mul_f32_e32 v189, v45, v189                              // 00000000A4DC: 0B7B7B2D
	v_mul_f32_e32 v190, v45, v190                              // 00000000A4E0: 0B7D7D2D
	v_mul_f32_e32 v191, v45, v191                              // 00000000A4E4: 0B7F7F2D
	s_waitcnt lgkmcnt(0)                                       // 00000000A4E8: BF8CC07F
	v_max3_f32 v48, v64, v65, v48                              // 00000000A4EC: D1D30030 04C28340
	v_max3_f32 v48, v66, v67, v48                              // 00000000A4F4: D1D30030 04C28742
	v_max3_f32 v48, v68, v69, v48                              // 00000000A4FC: D1D30030 04C28B44
	v_max3_f32 v48, v70, v71, v48                              // 00000000A504: D1D30030 04C28F46
	v_max3_f32 v48, v72, v73, v48                              // 00000000A50C: D1D30030 04C29348
	v_max3_f32 v48, v74, v75, v48                              // 00000000A514: D1D30030 04C2974A
	v_max3_f32 v48, v76, v77, v48                              // 00000000A51C: D1D30030 04C29B4C
	v_max3_f32 v48, v78, v79, v48                              // 00000000A524: D1D30030 04C29F4E
	v_mov_b32_e32 v64, 0xff800000                              // 00000000A52C: 7E8002FF FF800000
	v_cmp_eq_u32_e64 s[40:41], v64, v12                        // 00000000A534: D0CA0028 00021940
	s_nop 1                                                    // 00000000A53C: BF800001
	v_max_f32_e32 v15, v48, v12                                // 00000000A540: 161E1930
	v_mul_f32_e32 v53, s64, v15                                // 00000000A544: 0A6A1E40
	v_fma_f32 v128, v128, s64, -v53                            // 00000000A548: D1CB0080 84D48180
	v_fma_f32 v129, v129, s64, -v53                            // 00000000A550: D1CB0081 84D48181
	v_fma_f32 v130, v130, s64, -v53                            // 00000000A558: D1CB0082 84D48182
	v_fma_f32 v131, v131, s64, -v53                            // 00000000A560: D1CB0083 84D48183
	v_fma_f32 v132, v132, s64, -v53                            // 00000000A568: D1CB0084 84D48184
	v_fma_f32 v133, v133, s64, -v53                            // 00000000A570: D1CB0085 84D48185
	v_fma_f32 v134, v134, s64, -v53                            // 00000000A578: D1CB0086 84D48186
	v_fma_f32 v135, v135, s64, -v53                            // 00000000A580: D1CB0087 84D48187
	v_fma_f32 v136, v136, s64, -v53                            // 00000000A588: D1CB0088 84D48188
	v_fma_f32 v137, v137, s64, -v53                            // 00000000A590: D1CB0089 84D48189
	v_fma_f32 v138, v138, s64, -v53                            // 00000000A598: D1CB008A 84D4818A
	v_fma_f32 v139, v139, s64, -v53                            // 00000000A5A0: D1CB008B 84D4818B
	v_fma_f32 v140, v140, s64, -v53                            // 00000000A5A8: D1CB008C 84D4818C
	v_fma_f32 v141, v141, s64, -v53                            // 00000000A5B0: D1CB008D 84D4818D
	v_fma_f32 v142, v142, s64, -v53                            // 00000000A5B8: D1CB008E 84D4818E
	v_fma_f32 v143, v143, s64, -v53                            // 00000000A5C0: D1CB008F 84D4818F
	v_exp_f32_e32 v128, v128                                   // 00000000A5C8: 7F004180
	v_exp_f32_e32 v129, v129                                   // 00000000A5CC: 7F024181
	v_exp_f32_e32 v130, v130                                   // 00000000A5D0: 7F044182
	v_exp_f32_e32 v131, v131                                   // 00000000A5D4: 7F064183
	v_exp_f32_e32 v132, v132                                   // 00000000A5D8: 7F084184
	v_exp_f32_e32 v133, v133                                   // 00000000A5DC: 7F0A4185
	v_exp_f32_e32 v134, v134                                   // 00000000A5E0: 7F0C4186
	v_exp_f32_e32 v135, v135                                   // 00000000A5E4: 7F0E4187
	v_exp_f32_e32 v136, v136                                   // 00000000A5E8: 7F104188
	v_exp_f32_e32 v137, v137                                   // 00000000A5EC: 7F124189
	v_exp_f32_e32 v138, v138                                   // 00000000A5F0: 7F14418A
	v_exp_f32_e32 v139, v139                                   // 00000000A5F4: 7F16418B
	v_exp_f32_e32 v140, v140                                   // 00000000A5F8: 7F18418C
	v_exp_f32_e32 v141, v141                                   // 00000000A5FC: 7F1A418D
	v_exp_f32_e32 v142, v142                                   // 00000000A600: 7F1C418E
	v_exp_f32_e32 v143, v143                                   // 00000000A604: 7F1E418F
	v_mul_f32_dpp v240, v252, v128 quad_perm:[0,0,0,0] row_mask:0xf bank_mask:0xf// 00000000A608: 0BE100FA FF0000FC
	v_mul_f32_dpp v241, v252, v129 quad_perm:[1,1,1,1] row_mask:0xf bank_mask:0xf// 00000000A610: 0BE302FA FF0055FC
	v_mul_f32_dpp v242, v252, v130 quad_perm:[2,2,2,2] row_mask:0xf bank_mask:0xf// 00000000A618: 0BE504FA FF00AAFC
	v_mul_f32_dpp v243, v252, v131 quad_perm:[3,3,3,3] row_mask:0xf bank_mask:0xf// 00000000A620: 0BE706FA FF00FFFC
	v_mul_f32_dpp v244, v253, v132 quad_perm:[0,0,0,0] row_mask:0xf bank_mask:0xf// 00000000A628: 0BE908FA FF0000FD
	v_mul_f32_dpp v245, v253, v133 quad_perm:[1,1,1,1] row_mask:0xf bank_mask:0xf// 00000000A630: 0BEB0AFA FF0055FD
	v_mul_f32_dpp v246, v253, v134 quad_perm:[2,2,2,2] row_mask:0xf bank_mask:0xf// 00000000A638: 0BED0CFA FF00AAFD
	v_mul_f32_dpp v247, v253, v135 quad_perm:[3,3,3,3] row_mask:0xf bank_mask:0xf// 00000000A640: 0BEF0EFA FF00FFFD
	v_mul_f32_dpp v248, v254, v136 quad_perm:[0,0,0,0] row_mask:0xf bank_mask:0xf// 00000000A648: 0BF110FA FF0000FE
	v_mul_f32_dpp v249, v254, v137 quad_perm:[1,1,1,1] row_mask:0xf bank_mask:0xf// 00000000A650: 0BF312FA FF0055FE
	v_mul_f32_dpp v250, v254, v138 quad_perm:[2,2,2,2] row_mask:0xf bank_mask:0xf// 00000000A658: 0BF514FA FF00AAFE
	v_mul_f32_dpp v251, v254, v139 quad_perm:[3,3,3,3] row_mask:0xf bank_mask:0xf// 00000000A660: 0BF716FA FF00FFFE
	v_mul_f32_dpp v252, v255, v140 quad_perm:[0,0,0,0] row_mask:0xf bank_mask:0xf// 00000000A668: 0BF918FA FF0000FF
	v_mul_f32_dpp v253, v255, v141 quad_perm:[1,1,1,1] row_mask:0xf bank_mask:0xf// 00000000A670: 0BFB1AFA FF0055FF
	v_mul_f32_dpp v254, v255, v142 quad_perm:[2,2,2,2] row_mask:0xf bank_mask:0xf// 00000000A678: 0BFD1CFA FF00AAFF
	v_mul_f32_dpp v255, v255, v143 quad_perm:[3,3,3,3] row_mask:0xf bank_mask:0xf// 00000000A680: 0BFF1EFA FF00FFFF
	v_mov_b32_e32 v48, 0x358637bd                              // 00000000A688: 7E6002FF 358637BD
	v_max3_f32 v48, |v240|, |v241|, v48                        // 00000000A690: D1D30330 04C3E3F0
	v_max3_f32 v48, |v242|, |v243|, v48                        // 00000000A698: D1D30330 04C3E7F2
	v_max3_f32 v48, |v244|, |v245|, v48                        // 00000000A6A0: D1D30330 04C3EBF4
	v_max3_f32 v48, |v246|, |v247|, v48                        // 00000000A6A8: D1D30330 04C3EFF6
	v_max3_f32 v48, |v248|, |v249|, v48                        // 00000000A6B0: D1D30330 04C3F3F8
	v_max3_f32 v48, |v250|, |v251|, v48                        // 00000000A6B8: D1D30330 04C3F7FA
	v_max3_f32 v48, |v252|, |v253|, v48                        // 00000000A6C0: D1D30330 04C3FBFC
	v_max3_f32 v48, |v254|, |v255|, v48                        // 00000000A6C8: D1D30330 04C3FFFE
	ds_write_b32 v8, v48 offset:20992                          // 00000000A6D0: D81A5200 00003008
	v_sub_f32_e32 v50, v12, v15                                // 00000000A6D8: 04641F0C
	v_cndmask_b32_e64 v50, v50, 0, s[40:41]                    // 00000000A6DC: D1000032 00A10132
	v_mov_b32_e32 v12, v15                                     // 00000000A6E4: 7E18030F
	v_mul_f32_e32 v50, s64, v50                                // 00000000A6E8: 0A646440
	v_exp_f32_e32 v50, v50                                     // 00000000A6EC: 7E644132
	s_waitcnt lgkmcnt(0)                                       // 00000000A6F0: BF8CC07F
	s_barrier                                                  // 00000000A6F4: BF8A0000
	ds_read_b32 v64, v7 offset:20992                           // 00000000A6F8: D86C5200 40000007
	ds_read_b32 v65, v7 offset:21056                           // 00000000A700: D86C5240 41000007
	ds_read_b32 v66, v7 offset:21120                           // 00000000A708: D86C5280 42000007
	ds_read_b32 v67, v7 offset:21184                           // 00000000A710: D86C52C0 43000007
	ds_read_b32 v68, v7 offset:21248                           // 00000000A718: D86C5300 44000007
	ds_read_b32 v69, v7 offset:21312                           // 00000000A720: D86C5340 45000007
	ds_read_b32 v70, v7 offset:21376                           // 00000000A728: D86C5380 46000007
	ds_read_b32 v71, v7 offset:21440                           // 00000000A730: D86C53C0 47000007
	ds_read_b32 v72, v7 offset:21504                           // 00000000A738: D86C5400 48000007
	ds_read_b32 v73, v7 offset:21568                           // 00000000A740: D86C5440 49000007
	ds_read_b32 v74, v7 offset:21632                           // 00000000A748: D86C5480 4A000007
	ds_read_b32 v75, v7 offset:21696                           // 00000000A750: D86C54C0 4B000007
	ds_read_b32 v76, v7 offset:21760                           // 00000000A758: D86C5500 4C000007
	ds_read_b32 v77, v7 offset:21824                           // 00000000A760: D86C5540 4D000007
	ds_read_b32 v78, v7 offset:21888                           // 00000000A768: D86C5580 4E000007
	ds_read_b32 v79, v7 offset:21952                           // 00000000A770: D86C55C0 4F000007
	v_mul_f32_e32 v39, v50, v39                                // 00000000A778: 0A4E4F32
	v_mov_b32_e32 v15, v128                                    // 00000000A77C: 7E1E0380
	v_add_f32_e32 v15, v129, v15                               // 00000000A780: 021E1F81
	v_add_f32_e32 v15, v130, v15                               // 00000000A784: 021E1F82
	v_add_f32_e32 v15, v131, v15                               // 00000000A788: 021E1F83
	v_add_f32_e32 v15, v132, v15                               // 00000000A78C: 021E1F84
	v_add_f32_e32 v15, v133, v15                               // 00000000A790: 021E1F85
	v_add_f32_e32 v15, v134, v15                               // 00000000A794: 021E1F86
	v_add_f32_e32 v15, v135, v15                               // 00000000A798: 021E1F87
	v_add_f32_e32 v15, v136, v15                               // 00000000A79C: 021E1F88
	v_add_f32_e32 v15, v137, v15                               // 00000000A7A0: 021E1F89
	v_add_f32_e32 v15, v138, v15                               // 00000000A7A4: 021E1F8A
	v_add_f32_e32 v15, v139, v15                               // 00000000A7A8: 021E1F8B
	v_add_f32_e32 v15, v140, v15                               // 00000000A7AC: 021E1F8C
	v_add_f32_e32 v15, v141, v15                               // 00000000A7B0: 021E1F8D
	v_add_f32_e32 v15, v142, v15                               // 00000000A7B4: 021E1F8E
	v_add_f32_e32 v15, v143, v15                               // 00000000A7B8: 021E1F8F
	v_add_f32_e32 v39, v15, v39                                // 00000000A7BC: 024E4F0F
	s_waitcnt lgkmcnt(0)                                       // 00000000A7C0: BF8CC07F
	v_max3_f32 v48, |v64|, |v65|, v48                          // 00000000A7C4: D1D30330 04C28340
	v_max3_f32 v48, |v66|, |v67|, v48                          // 00000000A7CC: D1D30330 04C28742
	v_max3_f32 v48, |v68|, |v69|, v48                          // 00000000A7D4: D1D30330 04C28B44
	v_max3_f32 v48, |v70|, |v71|, v48                          // 00000000A7DC: D1D30330 04C28F46
	v_max3_f32 v48, |v72|, |v73|, v48                          // 00000000A7E4: D1D30330 04C29348
	v_max3_f32 v48, |v74|, |v75|, v48                          // 00000000A7EC: D1D30330 04C2974A
	v_max3_f32 v48, |v76|, |v77|, v48                          // 00000000A7F4: D1D30330 04C29B4C
	v_max3_f32 v48, |v78|, |v79|, v48                          // 00000000A7FC: D1D30330 04C29F4E
	s_nop 2                                                    // 00000000A804: BF800002
	v_rcp_f32_e32 v48, v48                                     // 00000000A808: 7E604530
	s_nop 1                                                    // 00000000A80C: BF800001
	v_mul_f32_e32 v48, 0x42fe0000, v48                         // 00000000A810: 0A6060FF 42FE0000
	v_mul_f32_e32 v128, v48, v240                              // 00000000A818: 0B01E130
	v_mul_f32_e32 v129, v48, v241                              // 00000000A81C: 0B03E330
	v_mul_f32_e32 v130, v48, v242                              // 00000000A820: 0B05E530
	v_mul_f32_e32 v131, v48, v243                              // 00000000A824: 0B07E730
	v_mul_f32_e32 v132, v48, v244                              // 00000000A828: 0B09E930
	v_mul_f32_e32 v133, v48, v245                              // 00000000A82C: 0B0BEB30
	v_mul_f32_e32 v134, v48, v246                              // 00000000A830: 0B0DED30
	v_mul_f32_e32 v135, v48, v247                              // 00000000A834: 0B0FEF30
	v_mul_f32_e32 v136, v48, v248                              // 00000000A838: 0B11F130
	v_mul_f32_e32 v137, v48, v249                              // 00000000A83C: 0B13F330
	v_mul_f32_e32 v138, v48, v250                              // 00000000A840: 0B15F530
	v_mul_f32_e32 v139, v48, v251                              // 00000000A844: 0B17F730
	v_mul_f32_e32 v140, v48, v252                              // 00000000A848: 0B19F930
	v_mul_f32_e32 v141, v48, v253                              // 00000000A84C: 0B1BFB30
	v_mul_f32_e32 v142, v48, v254                              // 00000000A850: 0B1DFD30
	v_mul_f32_e32 v143, v48, v255                              // 00000000A854: 0B1FFF30
	v_cvt_i32_f32_e32 v128, v128                               // 00000000A858: 7F001180
	v_cvt_i32_f32_e32 v129, v129                               // 00000000A85C: 7F021181
	v_cvt_i32_f32_e32 v130, v130                               // 00000000A860: 7F041182
	v_cvt_i32_f32_e32 v131, v131                               // 00000000A864: 7F061183
	v_cvt_i32_f32_e32 v132, v132                               // 00000000A868: 7F081184
	v_cvt_i32_f32_e32 v133, v133                               // 00000000A86C: 7F0A1185
	v_cvt_i32_f32_e32 v134, v134                               // 00000000A870: 7F0C1186
	v_cvt_i32_f32_e32 v135, v135                               // 00000000A874: 7F0E1187
	v_cvt_i32_f32_e32 v136, v136                               // 00000000A878: 7F101188
	v_cvt_i32_f32_e32 v137, v137                               // 00000000A87C: 7F121189
	v_cvt_i32_f32_e32 v138, v138                               // 00000000A880: 7F14118A
	v_cvt_i32_f32_e32 v139, v139                               // 00000000A884: 7F16118B
	v_cvt_i32_f32_e32 v140, v140                               // 00000000A888: 7F18118C
	v_cvt_i32_f32_e32 v141, v141                               // 00000000A88C: 7F1A118D
	v_cvt_i32_f32_e32 v142, v142                               // 00000000A890: 7F1C118E
	v_cvt_i32_f32_e32 v143, v143                               // 00000000A894: 7F1E118F
	v_perm_b32 v128, v129, v128, s53                           // 00000000A898: D1ED0080 00D70181
	v_perm_b32 v128, v130, v128, s54                           // 00000000A8A0: D1ED0080 00DB0182
	v_perm_b32 v128, v131, v128, s55                           // 00000000A8A8: D1ED0080 00DF0183
	v_perm_b32 v129, v133, v132, s53                           // 00000000A8B0: D1ED0081 00D70985
	v_perm_b32 v129, v134, v129, s54                           // 00000000A8B8: D1ED0081 00DB0386
	v_perm_b32 v129, v135, v129, s55                           // 00000000A8C0: D1ED0081 00DF0387
	v_perm_b32 v130, v137, v136, s53                           // 00000000A8C8: D1ED0082 00D71189
	v_perm_b32 v130, v138, v130, s54                           // 00000000A8D0: D1ED0082 00DB058A
	v_perm_b32 v130, v139, v130, s55                           // 00000000A8D8: D1ED0082 00DF058B
	v_perm_b32 v131, v141, v140, s53                           // 00000000A8E0: D1ED0083 00D7198D
	v_perm_b32 v131, v142, v131, s54                           // 00000000A8E8: D1ED0083 00DB078E
	v_perm_b32 v131, v143, v131, s55                           // 00000000A8F0: D1ED0083 00DF078F
	ds_write_b32 v10, v128 offset:29184                        // 00000000A8F8: D81A7200 0000800A
	ds_write_b32 v10, v129 offset:30208                        // 00000000A900: D81A7600 0000810A
	ds_write_b32 v10, v130 offset:31232                        // 00000000A908: D81A7A00 0000820A
	ds_write_b32 v10, v131 offset:32256                        // 00000000A910: D81A7E00 0000830A
	v_add_f32_e32 v216, v216, v184                             // 00000000A918: 03B171D8
	v_add_f32_e32 v217, v217, v185                             // 00000000A91C: 03B373D9
	v_add_f32_e32 v218, v218, v186                             // 00000000A920: 03B575DA
	v_add_f32_e32 v219, v219, v187                             // 00000000A924: 03B777DB
	v_add_f32_e32 v220, v220, v188                             // 00000000A928: 03B979DC
	v_add_f32_e32 v221, v221, v189                             // 00000000A92C: 03BB7BDD
	v_add_f32_e32 v222, v222, v190                             // 00000000A930: 03BD7DDE
	v_add_f32_e32 v223, v223, v191                             // 00000000A934: 03BF7FDF
	v_rcp_f32_e32 v45, v48                                     // 00000000A938: 7E5A4530
	s_waitcnt lgkmcnt(0)                                       // 00000000A93C: BF8CC07F
	s_barrier                                                  // 00000000A940: BF8A0000
	ds_read_b64 v[128:129], v9 offset:29184                    // 00000000A944: D8EC7200 80000009
	ds_read_b64 v[130:131], v9 offset:29312                    // 00000000A94C: D8EC7280 82000009
	ds_read_b64 v[132:133], v9 offset:30208                    // 00000000A954: D8EC7600 84000009
	ds_read_b64 v[134:135], v9 offset:30336                    // 00000000A95C: D8EC7680 86000009
	ds_read_b64 v[136:137], v9 offset:31232                    // 00000000A964: D8EC7A00 88000009
	ds_read_b64 v[138:139], v9 offset:31360                    // 00000000A96C: D8EC7A80 8A000009
	ds_read_b64 v[140:141], v9 offset:32256                    // 00000000A974: D8EC7E00 8C000009
	ds_read_b64 v[142:143], v9 offset:32384                    // 00000000A97C: D8EC7E80 8E000009
	s_waitcnt vmcnt(15)                                        // 00000000A984: BF8C0F7F
	v_mfma_i32_16x16x32_i8 v[176:179], a[96:97], v[112:113], 0 // 00000000A988: D3D700B0 0A02E160
	v_mfma_i32_16x16x32_i8 v[176:179], a[98:99], v[114:115], v[176:179]// 00000000A990: D3D700B0 0EC2E562
	buffer_load_dwordx4 a[80:83], v30, s[20:23], 0 offen offset:1024// 00000000A998: E05C1400 8085501E
	v_mfma_i32_16x16x32_i8 v[176:179], a[100:101], v[116:117], v[176:179]// 00000000A9A0: D3D700B0 0EC2E964
	v_mfma_i32_16x16x32_i8 v[176:179], a[102:103], v[118:119], v[176:179]// 00000000A9A8: D3D700B0 0EC2ED66
	v_mfma_i32_16x16x32_i8 v[176:179], a[104:105], v[120:121], v[176:179]// 00000000A9B0: D3D700B0 0EC2F168
	v_mfma_i32_16x16x32_i8 v[176:179], a[106:107], v[122:123], v[176:179]// 00000000A9B8: D3D700B0 0EC2F56A
	buffer_load_dwordx4 a[84:87], v31, s[20:23], 0 offen offset:1024// 00000000A9C0: E05C1400 8085541F
	v_mfma_i32_16x16x32_i8 v[176:179], a[108:109], v[124:125], v[176:179]// 00000000A9C8: D3D700B0 0EC2F96C
	v_mfma_i32_16x16x32_i8 v[176:179], a[110:111], v[126:127], v[176:179]// 00000000A9D0: D3D700B0 0EC2FD6E
	v_mfma_i32_16x16x32_i8 v[180:183], a[112:113], v[112:113], 0// 00000000A9D8: D3D700B4 0A02E170
	v_mfma_i32_16x16x32_i8 v[180:183], a[114:115], v[114:115], v[180:183]// 00000000A9E0: D3D700B4 0ED2E572
	buffer_load_dwordx4 a[88:91], v32, s[20:23], 0 offen offset:1024// 00000000A9E8: E05C1400 80855820
	v_mfma_i32_16x16x32_i8 v[180:183], a[116:117], v[116:117], v[180:183]// 00000000A9F0: D3D700B4 0ED2E974
	v_mfma_i32_16x16x32_i8 v[180:183], a[118:119], v[118:119], v[180:183]// 00000000A9F8: D3D700B4 0ED2ED76
	v_mfma_i32_16x16x32_i8 v[180:183], a[120:121], v[120:121], v[180:183]// 00000000AA00: D3D700B4 0ED2F178
	v_mfma_i32_16x16x32_i8 v[180:183], a[122:123], v[122:123], v[180:183]// 00000000AA08: D3D700B4 0ED2F57A
	buffer_load_dwordx4 a[92:95], v33, s[20:23], 0 offen offset:1024// 00000000AA10: E05C1400 80855C21
	v_mfma_i32_16x16x32_i8 v[180:183], a[124:125], v[124:125], v[180:183]// 00000000AA18: D3D700B4 0ED2F97C
	s_lshr_b32 s57, s70, 4                                     // 00000000AA20: 8F398446
	s_add_u32 s57, 48, s57                                     // 00000000AA24: 803939B0
	v_mfma_i32_16x16x32_i8 v[180:183], a[126:127], v[126:127], v[180:183]// 00000000AA28: D3D700B4 0ED2FD7E
	s_cmp_ge_u32 s57, s73                                      // 00000000AA30: BF094939
	s_cselect_b32 s56, 0, s56                                  // 00000000AA34: 85383880
	v_mfma_i32_16x16x32_i8 v[184:187], a[96:97], v[128:129], 0 // 00000000AA38: D3D700B8 0A030160
	v_mfma_i32_16x16x32_i8 v[184:187], a[98:99], v[130:131], v[184:187]// 00000000AA40: D3D700B8 0EE30562
	v_mfma_i32_16x16x32_i8 v[184:187], a[100:101], v[132:133], v[184:187]// 00000000AA48: D3D700B8 0EE30964
	v_mfma_i32_16x16x32_i8 v[184:187], a[102:103], v[134:135], v[184:187]// 00000000AA50: D3D700B8 0EE30D66
	v_mfma_i32_16x16x32_i8 v[184:187], a[104:105], v[136:137], v[184:187]// 00000000AA58: D3D700B8 0EE31168
	v_mfma_i32_16x16x32_i8 v[184:187], a[106:107], v[138:139], v[184:187]// 00000000AA60: D3D700B8 0EE3156A
	v_mfma_i32_16x16x32_i8 v[184:187], a[108:109], v[140:141], v[184:187]// 00000000AA68: D3D700B8 0EE3196C
	v_mfma_i32_16x16x32_i8 v[184:187], a[110:111], v[142:143], v[184:187]// 00000000AA70: D3D700B8 0EE31D6E
	v_mfma_i32_16x16x32_i8 v[188:191], a[112:113], v[128:129], 0// 00000000AA78: D3D700BC 0A030170
	v_mfma_i32_16x16x32_i8 v[188:191], a[114:115], v[130:131], v[188:191]// 00000000AA80: D3D700BC 0EF30572
	v_mfma_i32_16x16x32_i8 v[188:191], a[116:117], v[132:133], v[188:191]// 00000000AA88: D3D700BC 0EF30974
	v_mfma_i32_16x16x32_i8 v[188:191], a[118:119], v[134:135], v[188:191]// 00000000AA90: D3D700BC 0EF30D76
	v_mfma_i32_16x16x32_i8 v[188:191], a[120:121], v[136:137], v[188:191]// 00000000AA98: D3D700BC 0EF31178
	v_mfma_i32_16x16x32_i8 v[188:191], a[122:123], v[138:139], v[188:191]// 00000000AAA0: D3D700BC 0EF3157A
	v_mfma_i32_16x16x32_i8 v[188:191], a[124:125], v[140:141], v[188:191]// 00000000AAA8: D3D700BC 0EF3197C
	v_mfma_i32_16x16x32_i8 v[188:191], a[126:127], v[142:143], v[188:191]// 00000000AAB0: D3D700BC 0EF31D7E
	v_add_u32_e32 v1, s56, v1                                  // 00000000AAB8: 68020238
	s_addk_i32 s70, 0x100                                      // 00000000AABC: B7460100
	s_cmp_lt_i32 s70, s71                                      // 00000000AAC0: BF044746
	s_cbranch_scc0 label_2233                                  // 00000000AAC4: BF840001
	s_branch label_1728                                        // 00000000AAC8: BF82F4F5

000000000000aacc <label_2233>:
	s_nop 0                                                    // 00000000AACC: BF800000
	s_nop 0                                                    // 00000000AAD0: BF800000
	s_branch label_2D41                                        // 00000000AAD4: BF820B0B

000000000000aad8 <label_2236>:
	s_waitcnt vmcnt(8) lgkmcnt(0)                              // 00000000AAD8: BF8C0078
	v_mul_u32_u24_dpp v64, v17, v54 row_newbcast:0 row_mask:0xf bank_mask:0xf// 00000000AADC: 10806CFA FF015011
	v_mul_u32_u24_dpp v65, v17, v54 row_newbcast:4 row_mask:0xf bank_mask:0xf// 00000000AAE4: 10826CFA FF015411
	v_mul_u32_u24_dpp v66, v17, v54 row_newbcast:8 row_mask:0xf bank_mask:0xf// 00000000AAEC: 10846CFA FF015811
	v_mul_u32_u24_dpp v67, v17, v54 row_newbcast:12 row_mask:0xf bank_mask:0xf// 00000000AAF4: 10866CFA FF015C11
	v_add_u32_e32 v26, v64, v5                                 // 00000000AAFC: 68340B40
	v_add_u32_e32 v27, v65, v5                                 // 00000000AB00: 68360B41
	v_add_u32_e32 v28, v66, v5                                 // 00000000AB04: 68380B42
	v_add_u32_e32 v29, v67, v5                                 // 00000000AB08: 683A0B43
	v_mul_u32_u24_dpp v64, v17, v63 quad_perm:[0,0,0,0] row_mask:0xf bank_mask:0xf// 00000000AB0C: 10807EFA FF000011
	v_add_u32_e32 v3, v64, v59                                 // 00000000AB14: 68067740
	v_mul_u32_u24_dpp v64, v17, v63 quad_perm:[0,0,0,0] row_mask:0xf bank_mask:0xf// 00000000AB18: 10807EFA FF000011
	v_add_u32_e32 v56, v64, v60                                // 00000000AB20: 68707940
	v_mfma_i32_16x16x32_i8 v[112:115], a[0:1], v[80:81], 0     // 00000000AB24: D3D70070 0A02A100
	buffer_load_dwordx4 a[32:35], v26, s[16:19], 0 offen       // 00000000AB2C: E05C1000 8084201A
	v_mfma_i32_16x16x32_i8 v[112:115], a[2:3], v[82:83], v[112:115]// 00000000AB34: D3D70070 0DC2A502
	v_mfma_i32_16x16x32_i8 v[112:115], a[4:5], v[84:85], v[112:115]// 00000000AB3C: D3D70070 0DC2A904
	buffer_load_dword v16, v1, s[24:27], 0 offen               // 00000000AB44: E0501000 80061001
	v_mfma_i32_16x16x32_i8 v[112:115], a[6:7], v[86:87], v[112:115]// 00000000AB4C: D3D70070 0DC2AD06
	v_mfma_i32_16x16x32_i8 v[116:119], a[8:9], v[80:81], 0     // 00000000AB54: D3D70074 0A02A108
	buffer_load_dwordx4 a[36:39], v26, s[16:19], 0 offen offset:1024// 00000000AB5C: E05C1400 8084241A
	v_mfma_i32_16x16x32_i8 v[116:119], a[10:11], v[82:83], v[116:119]// 00000000AB64: D3D70074 0DD2A50A
	v_mfma_i32_16x16x32_i8 v[116:119], a[12:13], v[84:85], v[116:119]// 00000000AB6C: D3D70074 0DD2A90C
	v_mfma_i32_16x16x32_i8 v[116:119], a[14:15], v[86:87], v[116:119]// 00000000AB74: D3D70074 0DD2AD0E
	v_mfma_i32_16x16x32_i8 v[120:123], a[16:17], v[80:81], 0   // 00000000AB7C: D3D70078 0A02A110
	buffer_load_dwordx4 a[40:43], v27, s[16:19], 0 offen       // 00000000AB84: E05C1000 8084281B
	v_mfma_i32_16x16x32_i8 v[120:123], a[18:19], v[82:83], v[120:123]// 00000000AB8C: D3D70078 0DE2A512
	v_mfma_i32_16x16x32_i8 v[120:123], a[20:21], v[84:85], v[120:123]// 00000000AB94: D3D70078 0DE2A914
	v_mfma_i32_16x16x32_i8 v[120:123], a[22:23], v[86:87], v[120:123]// 00000000AB9C: D3D70078 0DE2AD16
	v_mfma_i32_16x16x32_i8 v[124:127], a[24:25], v[80:81], 0   // 00000000ABA4: D3D7007C 0A02A118
	buffer_load_dwordx4 a[44:47], v27, s[16:19], 0 offen offset:1024// 00000000ABAC: E05C1400 80842C1B
	v_mfma_i32_16x16x32_i8 v[124:127], a[26:27], v[82:83], v[124:127]// 00000000ABB4: D3D7007C 0DF2A51A
	v_mfma_i32_16x16x32_i8 v[124:127], a[28:29], v[84:85], v[124:127]// 00000000ABBC: D3D7007C 0DF2A91C
	v_mfma_i32_16x16x32_i8 v[124:127], a[30:31], v[86:87], v[124:127]// 00000000ABC4: D3D7007C 0DF2AD1E
	v_mfma_i32_16x16x32_i8 v[128:131], a[0:1], v[88:89], 0     // 00000000ABCC: D3D70080 0A02B100
	v_mfma_i32_16x16x32_i8 v[128:131], a[2:3], v[90:91], v[128:131]// 00000000ABD4: D3D70080 0E02B502
	v_mfma_i32_16x16x32_i8 v[128:131], a[4:5], v[92:93], v[128:131]// 00000000ABDC: D3D70080 0E02B904
	v_mfma_i32_16x16x32_i8 v[128:131], a[6:7], v[94:95], v[128:131]// 00000000ABE4: D3D70080 0E02BD06
	v_mfma_i32_16x16x32_i8 v[132:135], a[8:9], v[88:89], 0     // 00000000ABEC: D3D70084 0A02B108
	v_mfma_i32_16x16x32_i8 v[132:135], a[10:11], v[90:91], v[132:135]// 00000000ABF4: D3D70084 0E12B50A
	v_mfma_i32_16x16x32_i8 v[132:135], a[12:13], v[92:93], v[132:135]// 00000000ABFC: D3D70084 0E12B90C
	v_mfma_i32_16x16x32_i8 v[132:135], a[14:15], v[94:95], v[132:135]// 00000000AC04: D3D70084 0E12BD0E
	v_mfma_i32_16x16x32_i8 v[136:139], a[16:17], v[88:89], 0   // 00000000AC0C: D3D70088 0A02B110
	v_mfma_i32_16x16x32_i8 v[136:139], a[18:19], v[90:91], v[136:139]// 00000000AC14: D3D70088 0E22B512
	v_mfma_i32_16x16x32_i8 v[136:139], a[20:21], v[92:93], v[136:139]// 00000000AC1C: D3D70088 0E22B914
	v_mfma_i32_16x16x32_i8 v[136:139], a[22:23], v[94:95], v[136:139]// 00000000AC24: D3D70088 0E22BD16
	v_mfma_i32_16x16x32_i8 v[140:143], a[24:25], v[88:89], 0   // 00000000AC2C: D3D7008C 0A02B118
	v_mfma_i32_16x16x32_i8 v[140:143], a[26:27], v[90:91], v[140:143]// 00000000AC34: D3D7008C 0E32B51A
	v_mfma_i32_16x16x32_i8 v[140:143], a[28:29], v[92:93], v[140:143]// 00000000AC3C: D3D7008C 0E32B91C
	v_mfma_i32_16x16x32_i8 v[140:143], a[30:31], v[94:95], v[140:143]// 00000000AC44: D3D7008C 0E32BD1E
	buffer_load_dword v43, v3, s[32:35], 0 offen               // 00000000AC4C: E0501000 80082B03
	v_mov_b32_dpp v64, v42 row_shr:4 row_mask:0xf bank_mask:0xf// 00000000AC54: 7E8002FA FF01142A
	v_mov_b32_dpp v65, v42 row_shl:4 row_mask:0xf bank_mask:0xf// 00000000AC5C: 7E8202FA FF01042A
	v_cndmask_b32_e64 v248, v42, v64, s[44:45]                 // 00000000AC64: D10000F8 00B2812A
	v_cndmask_b32_e64 v249, v65, v42, s[44:45]                 // 00000000AC6C: D10000F9 00B25541
	v_mov_b32_dpp v64, v248 row_shr:8 row_mask:0xf bank_mask:0xf// 00000000AC74: 7E8002FA FF0118F8
	v_mov_b32_dpp v65, v248 row_shl:8 row_mask:0xf bank_mask:0xf// 00000000AC7C: 7E8202FA FF0108F8
	v_mov_b32_dpp v66, v249 row_shr:8 row_mask:0xf bank_mask:0xf// 00000000AC84: 7E8402FA FF0118F9
	v_mov_b32_dpp v67, v249 row_shl:8 row_mask:0xf bank_mask:0xf// 00000000AC8C: 7E8602FA FF0108F9
	v_mov_b32_e32 v68, v248                                    // 00000000AC94: 7E8803F8
	v_mov_b32_e32 v69, v249                                    // 00000000AC98: 7E8A03F9
	v_cndmask_b32_e64 v248, v68, v64, s[42:43]                 // 00000000AC9C: D10000F8 00AA8144
	v_cndmask_b32_e64 v250, v68, v65, s[78:79]                 // 00000000ACA4: D10000FA 013A8344
	v_cndmask_b32_e64 v249, v69, v66, s[42:43]                 // 00000000ACAC: D10000F9 00AA8545
	v_cndmask_b32_e64 v251, v69, v67, s[78:79]                 // 00000000ACB4: D10000FB 013A8745
	v_mov_b32_dpp v64, v57 row_shr:4 row_mask:0xf bank_mask:0xf// 00000000ACBC: 7E8002FA FF011439
	v_mov_b32_dpp v65, v57 row_shl:4 row_mask:0xf bank_mask:0xf// 00000000ACC4: 7E8202FA FF010439
	v_cndmask_b32_e64 v252, v57, v64, s[44:45]                 // 00000000ACCC: D10000FC 00B28139
	v_cndmask_b32_e64 v253, v65, v57, s[44:45]                 // 00000000ACD4: D10000FD 00B27341
	v_mov_b32_dpp v64, v252 row_shr:8 row_mask:0xf bank_mask:0xf// 00000000ACDC: 7E8002FA FF0118FC
	v_mov_b32_dpp v65, v252 row_shl:8 row_mask:0xf bank_mask:0xf// 00000000ACE4: 7E8202FA FF0108FC
	v_mov_b32_dpp v66, v253 row_shr:8 row_mask:0xf bank_mask:0xf// 00000000ACEC: 7E8402FA FF0118FD
	v_mov_b32_dpp v67, v253 row_shl:8 row_mask:0xf bank_mask:0xf// 00000000ACF4: 7E8602FA FF0108FD
	v_mov_b32_e32 v68, v252                                    // 00000000ACFC: 7E8803FC
	v_mov_b32_e32 v69, v253                                    // 00000000AD00: 7E8A03FD
	v_cndmask_b32_e64 v252, v68, v64, s[42:43]                 // 00000000AD04: D10000FC 00AA8144
	v_cndmask_b32_e64 v254, v68, v65, s[78:79]                 // 00000000AD0C: D10000FE 013A8344
	v_cndmask_b32_e64 v253, v69, v66, s[42:43]                 // 00000000AD14: D10000FD 00AA8545
	v_cndmask_b32_e64 v255, v69, v67, s[78:79]                 // 00000000AD1C: D10000FF 013A8745
	buffer_load_dword v58, v56, s[36:39], 0 offen              // 00000000AD24: E0501000 80093A38
	v_cvt_f32_i32_e32 v112, v112                               // 00000000AD2C: 7EE00B70
	v_cvt_f32_i32_e32 v113, v113                               // 00000000AD30: 7EE20B71
	v_cvt_f32_i32_e32 v114, v114                               // 00000000AD34: 7EE40B72
	v_cvt_f32_i32_e32 v115, v115                               // 00000000AD38: 7EE60B73
	v_cvt_f32_i32_e32 v116, v116                               // 00000000AD3C: 7EE80B74
	v_cvt_f32_i32_e32 v117, v117                               // 00000000AD40: 7EEA0B75
	v_cvt_f32_i32_e32 v118, v118                               // 00000000AD44: 7EEC0B76
	v_cvt_f32_i32_e32 v119, v119                               // 00000000AD48: 7EEE0B77
	v_cvt_f32_i32_e32 v120, v120                               // 00000000AD4C: 7EF00B78
	v_cvt_f32_i32_e32 v121, v121                               // 00000000AD50: 7EF20B79
	v_cvt_f32_i32_e32 v122, v122                               // 00000000AD54: 7EF40B7A
	v_cvt_f32_i32_e32 v123, v123                               // 00000000AD58: 7EF60B7B
	v_cvt_f32_i32_e32 v124, v124                               // 00000000AD5C: 7EF80B7C
	v_cvt_f32_i32_e32 v125, v125                               // 00000000AD60: 7EFA0B7D
	v_cvt_f32_i32_e32 v126, v126                               // 00000000AD64: 7EFC0B7E
	v_cvt_f32_i32_e32 v127, v127                               // 00000000AD68: 7EFE0B7F
	v_mul_f32_e32 v112, v18, v112                              // 00000000AD6C: 0AE0E112
	v_mul_f32_e32 v113, v18, v113                              // 00000000AD70: 0AE2E312
	v_mul_f32_e32 v114, v18, v114                              // 00000000AD74: 0AE4E512
	v_mul_f32_e32 v115, v18, v115                              // 00000000AD78: 0AE6E712
	v_mul_f32_e32 v116, v18, v116                              // 00000000AD7C: 0AE8E912
	v_mul_f32_e32 v117, v18, v117                              // 00000000AD80: 0AEAEB12
	v_mul_f32_e32 v118, v18, v118                              // 00000000AD84: 0AECED12
	v_mul_f32_e32 v119, v18, v119                              // 00000000AD88: 0AEEEF12
	v_mul_f32_e32 v120, v18, v120                              // 00000000AD8C: 0AF0F112
	v_mul_f32_e32 v121, v18, v121                              // 00000000AD90: 0AF2F312
	v_mul_f32_e32 v122, v18, v122                              // 00000000AD94: 0AF4F512
	v_mul_f32_e32 v123, v18, v123                              // 00000000AD98: 0AF6F712
	v_mul_f32_e32 v124, v18, v124                              // 00000000AD9C: 0AF8F912
	v_mul_f32_e32 v125, v18, v125                              // 00000000ADA0: 0AFAFB12
	v_mul_f32_e32 v126, v18, v126                              // 00000000ADA4: 0AFCFD12
	v_mul_f32_e32 v127, v18, v127                              // 00000000ADA8: 0AFEFF12
	buffer_load_dwordx4 a[48:51], v28, s[16:19], 0 offen       // 00000000ADAC: E05C1000 8084301C
	v_mul_f32_dpp v112, v248, v112 quad_perm:[0,0,0,0] row_mask:0xf bank_mask:0xf// 00000000ADB4: 0AE0E0FA FF0000F8
	v_mul_f32_dpp v113, v248, v113 quad_perm:[1,1,1,1] row_mask:0xf bank_mask:0xf// 00000000ADBC: 0AE2E2FA FF0055F8
	v_mul_f32_dpp v114, v248, v114 quad_perm:[2,2,2,2] row_mask:0xf bank_mask:0xf// 00000000ADC4: 0AE4E4FA FF00AAF8
	v_mul_f32_dpp v115, v248, v115 quad_perm:[3,3,3,3] row_mask:0xf bank_mask:0xf// 00000000ADCC: 0AE6E6FA FF00FFF8
	v_mul_f32_dpp v116, v249, v116 quad_perm:[0,0,0,0] row_mask:0xf bank_mask:0xf// 00000000ADD4: 0AE8E8FA FF0000F9
	v_mul_f32_dpp v117, v249, v117 quad_perm:[1,1,1,1] row_mask:0xf bank_mask:0xf// 00000000ADDC: 0AEAEAFA FF0055F9
	v_mul_f32_dpp v118, v249, v118 quad_perm:[2,2,2,2] row_mask:0xf bank_mask:0xf// 00000000ADE4: 0AECECFA FF00AAF9
	v_mul_f32_dpp v119, v249, v119 quad_perm:[3,3,3,3] row_mask:0xf bank_mask:0xf// 00000000ADEC: 0AEEEEFA FF00FFF9
	v_mul_f32_dpp v120, v250, v120 quad_perm:[0,0,0,0] row_mask:0xf bank_mask:0xf// 00000000ADF4: 0AF0F0FA FF0000FA
	v_mul_f32_dpp v121, v250, v121 quad_perm:[1,1,1,1] row_mask:0xf bank_mask:0xf// 00000000ADFC: 0AF2F2FA FF0055FA
	v_mul_f32_dpp v122, v250, v122 quad_perm:[2,2,2,2] row_mask:0xf bank_mask:0xf// 00000000AE04: 0AF4F4FA FF00AAFA
	v_mul_f32_dpp v123, v250, v123 quad_perm:[3,3,3,3] row_mask:0xf bank_mask:0xf// 00000000AE0C: 0AF6F6FA FF00FFFA
	v_mul_f32_dpp v124, v251, v124 quad_perm:[0,0,0,0] row_mask:0xf bank_mask:0xf// 00000000AE14: 0AF8F8FA FF0000FB
	v_mul_f32_dpp v125, v251, v125 quad_perm:[1,1,1,1] row_mask:0xf bank_mask:0xf// 00000000AE1C: 0AFAFAFA FF0055FB
	v_mul_f32_dpp v126, v251, v126 quad_perm:[2,2,2,2] row_mask:0xf bank_mask:0xf// 00000000AE24: 0AFCFCFA FF00AAFB
	v_mul_f32_dpp v127, v251, v127 quad_perm:[3,3,3,3] row_mask:0xf bank_mask:0xf// 00000000AE2C: 0AFEFEFA FF00FFFB
	buffer_load_dwordx4 a[52:55], v28, s[16:19], 0 offen offset:1024// 00000000AE34: E05C1400 8084341C
	s_cmp_le_i32 s90, s89                                      // 00000000AE3C: BF05595A
	s_cbranch_scc1 label_2382                                  // 00000000AE40: BF850071
	v_mov_b32_e32 v66, 0xff800000                              // 00000000AE44: 7E8402FF FF800000
	s_mov_b32 s60, s90                                         // 00000000AE4C: BEBC005A
	s_add_u32 s61, s89, 0xff                                   // 00000000AE50: 803DFF59 000000FF
	v_mov_b32_e32 v64, s61                                     // 00000000AE58: 7E80023D
	v_lshrrev_b32_e32 v240, 4, v0                              // 00000000AE5C: 21E00084
	v_mul_i32_i24_e32 v240, 4, v240                            // 00000000AE60: 0DE1E084
	v_add_u32_e32 v240, s60, v240                              // 00000000AE64: 69E1E03C
	s_mov_b32 s61, 0                                           // 00000000AE68: BEBD0080
	s_mul_i32 s60, 16, s7                                      // 00000000AE6C: 923C0790
	v_sub_u32_e64 v240, v240, s61                              // 00000000AE70: D13500F0 00007BF0
	v_add_u32_e32 v240, s60, v240                              // 00000000AE78: 69E1E03C
	v_add_u32_e32 v241, 1, v240                                // 00000000AE7C: 69E3E081
	v_add_u32_e32 v242, 2, v240                                // 00000000AE80: 69E5E082
	v_add_u32_e32 v243, 3, v240                                // 00000000AE84: 69E7E083
	v_cmp_le_u32_e64 s[40:41], v240, v64                       // 00000000AE88: D0CB0028 000281F0
	v_add_u32_e32 v240, 64, v240                               // 00000000AE90: 69E1E0C0
	s_nop 0                                                    // 00000000AE94: BF800000
	v_cndmask_b32_e64 v112, v66, v112, s[40:41]                // 00000000AE98: D1000070 00A2E142
	v_cmp_le_u32_e64 s[40:41], v241, v64                       // 00000000AEA0: D0CB0028 000281F1
	v_add_u32_e32 v241, 64, v241                               // 00000000AEA8: 69E3E2C0
	s_nop 0                                                    // 00000000AEAC: BF800000
	v_cndmask_b32_e64 v113, v66, v113, s[40:41]                // 00000000AEB0: D1000071 00A2E342
	v_cmp_le_u32_e64 s[40:41], v242, v64                       // 00000000AEB8: D0CB0028 000281F2
	v_add_u32_e32 v242, 64, v242                               // 00000000AEC0: 69E5E4C0
	s_nop 0                                                    // 00000000AEC4: BF800000
	v_cndmask_b32_e64 v114, v66, v114, s[40:41]                // 00000000AEC8: D1000072 00A2E542
	v_cmp_le_u32_e64 s[40:41], v243, v64                       // 00000000AED0: D0CB0028 000281F3
	v_add_u32_e32 v243, 64, v243                               // 00000000AED8: 69E7E6C0
	s_nop 0                                                    // 00000000AEDC: BF800000
	v_cndmask_b32_e64 v115, v66, v115, s[40:41]                // 00000000AEE0: D1000073 00A2E742
	v_cmp_le_u32_e64 s[40:41], v240, v64                       // 00000000AEE8: D0CB0028 000281F0
	v_add_u32_e32 v240, 64, v240                               // 00000000AEF0: 69E1E0C0
	s_nop 0                                                    // 00000000AEF4: BF800000
	v_cndmask_b32_e64 v116, v66, v116, s[40:41]                // 00000000AEF8: D1000074 00A2E942
	v_cmp_le_u32_e64 s[40:41], v241, v64                       // 00000000AF00: D0CB0028 000281F1
	v_add_u32_e32 v241, 64, v241                               // 00000000AF08: 69E3E2C0
	s_nop 0                                                    // 00000000AF0C: BF800000
	v_cndmask_b32_e64 v117, v66, v117, s[40:41]                // 00000000AF10: D1000075 00A2EB42
	v_cmp_le_u32_e64 s[40:41], v242, v64                       // 00000000AF18: D0CB0028 000281F2
	v_add_u32_e32 v242, 64, v242                               // 00000000AF20: 69E5E4C0
	s_nop 0                                                    // 00000000AF24: BF800000
	v_cndmask_b32_e64 v118, v66, v118, s[40:41]                // 00000000AF28: D1000076 00A2ED42
	v_cmp_le_u32_e64 s[40:41], v243, v64                       // 00000000AF30: D0CB0028 000281F3
	v_add_u32_e32 v243, 64, v243                               // 00000000AF38: 69E7E6C0
	s_nop 0                                                    // 00000000AF3C: BF800000
	v_cndmask_b32_e64 v119, v66, v119, s[40:41]                // 00000000AF40: D1000077 00A2EF42
	v_cmp_le_u32_e64 s[40:41], v240, v64                       // 00000000AF48: D0CB0028 000281F0
	v_add_u32_e32 v240, 64, v240                               // 00000000AF50: 69E1E0C0
	s_nop 0                                                    // 00000000AF54: BF800000
	v_cndmask_b32_e64 v120, v66, v120, s[40:41]                // 00000000AF58: D1000078 00A2F142
	v_cmp_le_u32_e64 s[40:41], v241, v64                       // 00000000AF60: D0CB0028 000281F1
	v_add_u32_e32 v241, 64, v241                               // 00000000AF68: 69E3E2C0
	s_nop 0                                                    // 00000000AF6C: BF800000
	v_cndmask_b32_e64 v121, v66, v121, s[40:41]                // 00000000AF70: D1000079 00A2F342
	v_cmp_le_u32_e64 s[40:41], v242, v64                       // 00000000AF78: D0CB0028 000281F2
	v_add_u32_e32 v242, 64, v242                               // 00000000AF80: 69E5E4C0
	s_nop 0                                                    // 00000000AF84: BF800000
	v_cndmask_b32_e64 v122, v66, v122, s[40:41]                // 00000000AF88: D100007A 00A2F542
	v_cmp_le_u32_e64 s[40:41], v243, v64                       // 00000000AF90: D0CB0028 000281F3
	v_add_u32_e32 v243, 64, v243                               // 00000000AF98: 69E7E6C0
	s_nop 0                                                    // 00000000AF9C: BF800000
	v_cndmask_b32_e64 v123, v66, v123, s[40:41]                // 00000000AFA0: D100007B 00A2F742
	v_cmp_le_u32_e64 s[40:41], v240, v64                       // 00000000AFA8: D0CB0028 000281F0
	v_add_u32_e32 v240, 64, v240                               // 00000000AFB0: 69E1E0C0
	s_nop 0                                                    // 00000000AFB4: BF800000
	v_cndmask_b32_e64 v124, v66, v124, s[40:41]                // 00000000AFB8: D100007C 00A2F942
	v_cmp_le_u32_e64 s[40:41], v241, v64                       // 00000000AFC0: D0CB0028 000281F1
	v_add_u32_e32 v241, 64, v241                               // 00000000AFC8: 69E3E2C0
	s_nop 0                                                    // 00000000AFCC: BF800000
	v_cndmask_b32_e64 v125, v66, v125, s[40:41]                // 00000000AFD0: D100007D 00A2FB42
	v_cmp_le_u32_e64 s[40:41], v242, v64                       // 00000000AFD8: D0CB0028 000281F2
	v_add_u32_e32 v242, 64, v242                               // 00000000AFE0: 69E5E4C0
	s_nop 0                                                    // 00000000AFE4: BF800000
	v_cndmask_b32_e64 v126, v66, v126, s[40:41]                // 00000000AFE8: D100007E 00A2FD42
	v_cmp_le_u32_e64 s[40:41], v243, v64                       // 00000000AFF0: D0CB0028 000281F3
	v_add_u32_e32 v243, 64, v243                               // 00000000AFF8: 69E7E6C0
	s_nop 0                                                    // 00000000AFFC: BF800000
	v_cndmask_b32_e64 v127, v66, v127, s[40:41]                // 00000000B000: D100007F 00A2FF42

000000000000b008 <label_2382>:
	v_mov_b32_e32 v48, v112                                    // 00000000B008: 7E600370
	v_max3_f32 v48, v112, v113, v48                            // 00000000B00C: D1D30030 04C2E370
	v_max3_f32 v48, v114, v115, v48                            // 00000000B014: D1D30030 04C2E772
	v_max3_f32 v48, v116, v117, v48                            // 00000000B01C: D1D30030 04C2EB74
	v_max3_f32 v48, v118, v119, v48                            // 00000000B024: D1D30030 04C2EF76
	v_max3_f32 v48, v120, v121, v48                            // 00000000B02C: D1D30030 04C2F378
	v_max3_f32 v48, v122, v123, v48                            // 00000000B034: D1D30030 04C2F77A
	v_max3_f32 v48, v124, v125, v48                            // 00000000B03C: D1D30030 04C2FB7C
	v_max3_f32 v48, v126, v127, v48                            // 00000000B044: D1D30030 04C2FF7E
	ds_write_b32 v8, v48 offset:16896                          // 00000000B04C: D81A4200 00003008
	buffer_load_dwordx4 a[56:59], v29, s[16:19], 0 offen       // 00000000B054: E05C1000 8084381D
	v_mul_u32_u24_dpp v64, v17, v54 row_newbcast:1 row_mask:0xf bank_mask:0xf// 00000000B05C: 10806CFA FF015111
	v_mul_u32_u24_dpp v65, v17, v54 row_newbcast:5 row_mask:0xf bank_mask:0xf// 00000000B064: 10826CFA FF015511
	v_mul_u32_u24_dpp v66, v17, v54 row_newbcast:9 row_mask:0xf bank_mask:0xf// 00000000B06C: 10846CFA FF015911
	v_mul_u32_u24_dpp v67, v17, v54 row_newbcast:13 row_mask:0xf bank_mask:0xf// 00000000B074: 10866CFA FF015D11
	v_add_u32_e32 v34, v64, v6                                 // 00000000B07C: 68440D40
	v_add_u32_e32 v35, v65, v6                                 // 00000000B080: 68460D41
	v_add_u32_e32 v36, v66, v6                                 // 00000000B084: 68480D42
	v_add_u32_e32 v37, v67, v6                                 // 00000000B088: 684A0D43
	v_mul_f32_e32 v208, v49, v208                              // 00000000B08C: 0BA1A131
	v_mul_f32_e32 v209, v49, v209                              // 00000000B090: 0BA3A331
	v_mul_f32_e32 v210, v49, v210                              // 00000000B094: 0BA5A531
	v_mul_f32_e32 v211, v49, v211                              // 00000000B098: 0BA7A731
	v_mul_f32_e32 v212, v49, v212                              // 00000000B09C: 0BA9A931
	v_mul_f32_e32 v213, v49, v213                              // 00000000B0A0: 0BABAB31
	v_mul_f32_e32 v214, v49, v214                              // 00000000B0A4: 0BADAD31
	v_mul_f32_e32 v215, v49, v215                              // 00000000B0A8: 0BAFAF31
	s_waitcnt lgkmcnt(0)                                       // 00000000B0AC: BF8CC07F
	s_barrier                                                  // 00000000B0B0: BF8A0000
	ds_read_b32 v64, v7 offset:16896                           // 00000000B0B4: D86C4200 40000007
	ds_read_b32 v65, v7 offset:16960                           // 00000000B0BC: D86C4240 41000007
	ds_read_b32 v66, v7 offset:17024                           // 00000000B0C4: D86C4280 42000007
	ds_read_b32 v67, v7 offset:17088                           // 00000000B0CC: D86C42C0 43000007
	ds_read_b32 v68, v7 offset:17152                           // 00000000B0D4: D86C4300 44000007
	ds_read_b32 v69, v7 offset:17216                           // 00000000B0DC: D86C4340 45000007
	ds_read_b32 v70, v7 offset:17280                           // 00000000B0E4: D86C4380 46000007
	ds_read_b32 v71, v7 offset:17344                           // 00000000B0EC: D86C43C0 47000007
	ds_read_b32 v72, v7 offset:17408                           // 00000000B0F4: D86C4400 48000007
	ds_read_b32 v73, v7 offset:17472                           // 00000000B0FC: D86C4440 49000007
	ds_read_b32 v74, v7 offset:17536                           // 00000000B104: D86C4480 4A000007
	ds_read_b32 v75, v7 offset:17600                           // 00000000B10C: D86C44C0 4B000007
	ds_read_b32 v76, v7 offset:17664                           // 00000000B114: D86C4500 4C000007
	ds_read_b32 v77, v7 offset:17728                           // 00000000B11C: D86C4540 4D000007
	ds_read_b32 v78, v7 offset:17792                           // 00000000B124: D86C4580 4E000007
	ds_read_b32 v79, v7 offset:17856                           // 00000000B12C: D86C45C0 4F000007
	buffer_load_dwordx4 a[60:63], v29, s[16:19], 0 offen offset:1024// 00000000B134: E05C1400 80843C1D
	v_cvt_f32_i32_e32 v176, v176                               // 00000000B13C: 7F600BB0
	v_cvt_f32_i32_e32 v177, v177                               // 00000000B140: 7F620BB1
	v_cvt_f32_i32_e32 v178, v178                               // 00000000B144: 7F640BB2
	v_cvt_f32_i32_e32 v179, v179                               // 00000000B148: 7F660BB3
	v_cvt_f32_i32_e32 v180, v180                               // 00000000B14C: 7F680BB4
	v_cvt_f32_i32_e32 v181, v181                               // 00000000B150: 7F6A0BB5
	v_cvt_f32_i32_e32 v182, v182                               // 00000000B154: 7F6C0BB6
	v_cvt_f32_i32_e32 v183, v183                               // 00000000B158: 7F6E0BB7
	v_mul_f32_e32 v176, v44, v176                              // 00000000B15C: 0B61612C
	v_mul_f32_e32 v177, v44, v177                              // 00000000B160: 0B63632C
	v_mul_f32_e32 v178, v44, v178                              // 00000000B164: 0B65652C
	v_mul_f32_e32 v179, v44, v179                              // 00000000B168: 0B67672C
	v_mul_f32_e32 v180, v44, v180                              // 00000000B16C: 0B69692C
	v_mul_f32_e32 v181, v44, v181                              // 00000000B170: 0B6B6B2C
	v_mul_f32_e32 v182, v44, v182                              // 00000000B174: 0B6D6D2C
	v_mul_f32_e32 v183, v44, v183                              // 00000000B178: 0B6F6F2C
	s_waitcnt lgkmcnt(0)                                       // 00000000B17C: BF8CC07F
	v_max3_f32 v48, v64, v65, v48                              // 00000000B180: D1D30030 04C28340
	v_max3_f32 v48, v66, v67, v48                              // 00000000B188: D1D30030 04C28742
	v_max3_f32 v48, v68, v69, v48                              // 00000000B190: D1D30030 04C28B44
	v_max3_f32 v48, v70, v71, v48                              // 00000000B198: D1D30030 04C28F46
	v_max3_f32 v48, v72, v73, v48                              // 00000000B1A0: D1D30030 04C29348
	v_max3_f32 v48, v74, v75, v48                              // 00000000B1A8: D1D30030 04C2974A
	v_max3_f32 v48, v76, v77, v48                              // 00000000B1B0: D1D30030 04C29B4C
	v_max3_f32 v48, v78, v79, v48                              // 00000000B1B8: D1D30030 04C29F4E
	buffer_load_dwordx4 a[96:99], v34, s[20:23], 0 offen       // 00000000B1C0: E05C1000 80856022
	v_mov_b32_e32 v64, 0xff800000                              // 00000000B1C8: 7E8002FF FF800000
	v_cmp_eq_u32_e64 s[40:41], v64, v11                        // 00000000B1D0: D0CA0028 00021740
	s_nop 1                                                    // 00000000B1D8: BF800001
	v_max_f32_e32 v15, v48, v11                                // 00000000B1DC: 161E1730
	v_mul_f32_e32 v53, s64, v15                                // 00000000B1E0: 0A6A1E40
	v_fma_f32 v112, v112, s64, -v53                            // 00000000B1E4: D1CB0070 84D48170
	v_fma_f32 v113, v113, s64, -v53                            // 00000000B1EC: D1CB0071 84D48171
	v_fma_f32 v114, v114, s64, -v53                            // 00000000B1F4: D1CB0072 84D48172
	v_fma_f32 v115, v115, s64, -v53                            // 00000000B1FC: D1CB0073 84D48173
	v_fma_f32 v116, v116, s64, -v53                            // 00000000B204: D1CB0074 84D48174
	v_fma_f32 v117, v117, s64, -v53                            // 00000000B20C: D1CB0075 84D48175
	v_fma_f32 v118, v118, s64, -v53                            // 00000000B214: D1CB0076 84D48176
	v_fma_f32 v119, v119, s64, -v53                            // 00000000B21C: D1CB0077 84D48177
	v_fma_f32 v120, v120, s64, -v53                            // 00000000B224: D1CB0078 84D48178
	v_fma_f32 v121, v121, s64, -v53                            // 00000000B22C: D1CB0079 84D48179
	v_fma_f32 v122, v122, s64, -v53                            // 00000000B234: D1CB007A 84D4817A
	v_fma_f32 v123, v123, s64, -v53                            // 00000000B23C: D1CB007B 84D4817B
	v_fma_f32 v124, v124, s64, -v53                            // 00000000B244: D1CB007C 84D4817C
	v_fma_f32 v125, v125, s64, -v53                            // 00000000B24C: D1CB007D 84D4817D
	v_fma_f32 v126, v126, s64, -v53                            // 00000000B254: D1CB007E 84D4817E
	v_fma_f32 v127, v127, s64, -v53                            // 00000000B25C: D1CB007F 84D4817F
	buffer_load_dwordx4 a[100:103], v35, s[20:23], 0 offen     // 00000000B264: E05C1000 80856423
	v_exp_f32_e32 v112, v112                                   // 00000000B26C: 7EE04170
	v_exp_f32_e32 v113, v113                                   // 00000000B270: 7EE24171
	v_exp_f32_e32 v114, v114                                   // 00000000B274: 7EE44172
	v_exp_f32_e32 v115, v115                                   // 00000000B278: 7EE64173
	v_exp_f32_e32 v116, v116                                   // 00000000B27C: 7EE84174
	v_exp_f32_e32 v117, v117                                   // 00000000B280: 7EEA4175
	v_exp_f32_e32 v118, v118                                   // 00000000B284: 7EEC4176
	v_exp_f32_e32 v119, v119                                   // 00000000B288: 7EEE4177
	v_exp_f32_e32 v120, v120                                   // 00000000B28C: 7EF04178
	v_exp_f32_e32 v121, v121                                   // 00000000B290: 7EF24179
	v_exp_f32_e32 v122, v122                                   // 00000000B294: 7EF4417A
	v_exp_f32_e32 v123, v123                                   // 00000000B298: 7EF6417B
	v_exp_f32_e32 v124, v124                                   // 00000000B29C: 7EF8417C
	v_exp_f32_e32 v125, v125                                   // 00000000B2A0: 7EFA417D
	v_exp_f32_e32 v126, v126                                   // 00000000B2A4: 7EFC417E
	v_exp_f32_e32 v127, v127                                   // 00000000B2A8: 7EFE417F
	buffer_load_dwordx4 a[104:107], v36, s[20:23], 0 offen     // 00000000B2AC: E05C1000 80856824
	v_mul_f32_dpp v240, v252, v112 quad_perm:[0,0,0,0] row_mask:0xf bank_mask:0xf// 00000000B2B4: 0BE0E0FA FF0000FC
	v_mul_f32_dpp v241, v252, v113 quad_perm:[1,1,1,1] row_mask:0xf bank_mask:0xf// 00000000B2BC: 0BE2E2FA FF0055FC
	v_mul_f32_dpp v242, v252, v114 quad_perm:[2,2,2,2] row_mask:0xf bank_mask:0xf// 00000000B2C4: 0BE4E4FA FF00AAFC
	v_mul_f32_dpp v243, v252, v115 quad_perm:[3,3,3,3] row_mask:0xf bank_mask:0xf// 00000000B2CC: 0BE6E6FA FF00FFFC
	v_mul_f32_dpp v244, v253, v116 quad_perm:[0,0,0,0] row_mask:0xf bank_mask:0xf// 00000000B2D4: 0BE8E8FA FF0000FD
	v_mul_f32_dpp v245, v253, v117 quad_perm:[1,1,1,1] row_mask:0xf bank_mask:0xf// 00000000B2DC: 0BEAEAFA FF0055FD
	v_mul_f32_dpp v246, v253, v118 quad_perm:[2,2,2,2] row_mask:0xf bank_mask:0xf// 00000000B2E4: 0BECECFA FF00AAFD
	v_mul_f32_dpp v247, v253, v119 quad_perm:[3,3,3,3] row_mask:0xf bank_mask:0xf// 00000000B2EC: 0BEEEEFA FF00FFFD
	v_mul_f32_dpp v248, v254, v120 quad_perm:[0,0,0,0] row_mask:0xf bank_mask:0xf// 00000000B2F4: 0BF0F0FA FF0000FE
	v_mul_f32_dpp v249, v254, v121 quad_perm:[1,1,1,1] row_mask:0xf bank_mask:0xf// 00000000B2FC: 0BF2F2FA FF0055FE
	v_mul_f32_dpp v250, v254, v122 quad_perm:[2,2,2,2] row_mask:0xf bank_mask:0xf// 00000000B304: 0BF4F4FA FF00AAFE
	v_mul_f32_dpp v251, v254, v123 quad_perm:[3,3,3,3] row_mask:0xf bank_mask:0xf// 00000000B30C: 0BF6F6FA FF00FFFE
	v_mul_f32_dpp v252, v255, v124 quad_perm:[0,0,0,0] row_mask:0xf bank_mask:0xf// 00000000B314: 0BF8F8FA FF0000FF
	v_mul_f32_dpp v253, v255, v125 quad_perm:[1,1,1,1] row_mask:0xf bank_mask:0xf// 00000000B31C: 0BFAFAFA FF0055FF
	v_mul_f32_dpp v254, v255, v126 quad_perm:[2,2,2,2] row_mask:0xf bank_mask:0xf// 00000000B324: 0BFCFCFA FF00AAFF
	v_mul_f32_dpp v255, v255, v127 quad_perm:[3,3,3,3] row_mask:0xf bank_mask:0xf// 00000000B32C: 0BFEFEFA FF00FFFF
	v_mov_b32_e32 v48, 0x358637bd                              // 00000000B334: 7E6002FF 358637BD
	v_max3_f32 v48, |v240|, |v241|, v48                        // 00000000B33C: D1D30330 04C3E3F0
	v_max3_f32 v48, |v242|, |v243|, v48                        // 00000000B344: D1D30330 04C3E7F2
	v_max3_f32 v48, |v244|, |v245|, v48                        // 00000000B34C: D1D30330 04C3EBF4
	v_max3_f32 v48, |v246|, |v247|, v48                        // 00000000B354: D1D30330 04C3EFF6
	v_max3_f32 v48, |v248|, |v249|, v48                        // 00000000B35C: D1D30330 04C3F3F8
	v_max3_f32 v48, |v250|, |v251|, v48                        // 00000000B364: D1D30330 04C3F7FA
	v_max3_f32 v48, |v252|, |v253|, v48                        // 00000000B36C: D1D30330 04C3FBFC
	v_max3_f32 v48, |v254|, |v255|, v48                        // 00000000B374: D1D30330 04C3FFFE
	buffer_load_dwordx4 a[108:111], v37, s[20:23], 0 offen     // 00000000B37C: E05C1000 80856C25
	ds_write_b32 v8, v48 offset:20992                          // 00000000B384: D81A5200 00003008
	v_sub_f32_e32 v49, v11, v15                                // 00000000B38C: 04621F0B
	v_cndmask_b32_e64 v49, v49, 0, s[40:41]                    // 00000000B390: D1000031 00A10131
	v_mov_b32_e32 v11, v15                                     // 00000000B398: 7E16030F
	v_mul_f32_e32 v49, s64, v49                                // 00000000B39C: 0A626240
	v_exp_f32_e32 v49, v49                                     // 00000000B3A0: 7E624131
	s_waitcnt lgkmcnt(0)                                       // 00000000B3A4: BF8CC07F
	s_barrier                                                  // 00000000B3A8: BF8A0000
	ds_read_b32 v64, v7 offset:20992                           // 00000000B3AC: D86C5200 40000007
	ds_read_b32 v65, v7 offset:21056                           // 00000000B3B4: D86C5240 41000007
	ds_read_b32 v66, v7 offset:21120                           // 00000000B3BC: D86C5280 42000007
	ds_read_b32 v67, v7 offset:21184                           // 00000000B3C4: D86C52C0 43000007
	ds_read_b32 v68, v7 offset:21248                           // 00000000B3CC: D86C5300 44000007
	ds_read_b32 v69, v7 offset:21312                           // 00000000B3D4: D86C5340 45000007
	ds_read_b32 v70, v7 offset:21376                           // 00000000B3DC: D86C5380 46000007
	ds_read_b32 v71, v7 offset:21440                           // 00000000B3E4: D86C53C0 47000007
	ds_read_b32 v72, v7 offset:21504                           // 00000000B3EC: D86C5400 48000007
	ds_read_b32 v73, v7 offset:21568                           // 00000000B3F4: D86C5440 49000007
	ds_read_b32 v74, v7 offset:21632                           // 00000000B3FC: D86C5480 4A000007
	ds_read_b32 v75, v7 offset:21696                           // 00000000B404: D86C54C0 4B000007
	ds_read_b32 v76, v7 offset:21760                           // 00000000B40C: D86C5500 4C000007
	ds_read_b32 v77, v7 offset:21824                           // 00000000B414: D86C5540 4D000007
	ds_read_b32 v78, v7 offset:21888                           // 00000000B41C: D86C5580 4E000007
	ds_read_b32 v79, v7 offset:21952                           // 00000000B424: D86C55C0 4F000007
	v_mul_f32_e32 v38, v49, v38                                // 00000000B42C: 0A4C4D31
	v_mov_b32_e32 v15, v112                                    // 00000000B430: 7E1E0370
	v_add_f32_e32 v15, v113, v15                               // 00000000B434: 021E1F71
	v_add_f32_e32 v15, v114, v15                               // 00000000B438: 021E1F72
	v_add_f32_e32 v15, v115, v15                               // 00000000B43C: 021E1F73
	v_add_f32_e32 v15, v116, v15                               // 00000000B440: 021E1F74
	v_add_f32_e32 v15, v117, v15                               // 00000000B444: 021E1F75
	v_add_f32_e32 v15, v118, v15                               // 00000000B448: 021E1F76
	v_add_f32_e32 v15, v119, v15                               // 00000000B44C: 021E1F77
	v_add_f32_e32 v15, v120, v15                               // 00000000B450: 021E1F78
	v_add_f32_e32 v15, v121, v15                               // 00000000B454: 021E1F79
	v_add_f32_e32 v15, v122, v15                               // 00000000B458: 021E1F7A
	v_add_f32_e32 v15, v123, v15                               // 00000000B45C: 021E1F7B
	v_add_f32_e32 v15, v124, v15                               // 00000000B460: 021E1F7C
	v_add_f32_e32 v15, v125, v15                               // 00000000B464: 021E1F7D
	v_add_f32_e32 v15, v126, v15                               // 00000000B468: 021E1F7E
	v_add_f32_e32 v15, v127, v15                               // 00000000B46C: 021E1F7F
	v_add_f32_e32 v38, v15, v38                                // 00000000B470: 024C4D0F
	s_waitcnt lgkmcnt(0)                                       // 00000000B474: BF8CC07F
	v_max3_f32 v48, |v64|, |v65|, v48                          // 00000000B478: D1D30330 04C28340
	v_max3_f32 v48, |v66|, |v67|, v48                          // 00000000B480: D1D30330 04C28742
	v_max3_f32 v48, |v68|, |v69|, v48                          // 00000000B488: D1D30330 04C28B44
	v_max3_f32 v48, |v70|, |v71|, v48                          // 00000000B490: D1D30330 04C28F46
	v_max3_f32 v48, |v72|, |v73|, v48                          // 00000000B498: D1D30330 04C29348
	v_max3_f32 v48, |v74|, |v75|, v48                          // 00000000B4A0: D1D30330 04C2974A
	v_max3_f32 v48, |v76|, |v77|, v48                          // 00000000B4A8: D1D30330 04C29B4C
	v_max3_f32 v48, |v78|, |v79|, v48                          // 00000000B4B0: D1D30330 04C29F4E
	s_nop 2                                                    // 00000000B4B8: BF800002
	v_rcp_f32_e32 v48, v48                                     // 00000000B4BC: 7E604530
	s_nop 1                                                    // 00000000B4C0: BF800001
	v_mul_f32_e32 v48, 0x42fe0000, v48                         // 00000000B4C4: 0A6060FF 42FE0000
	v_mul_f32_e32 v112, v48, v240                              // 00000000B4CC: 0AE1E130
	v_mul_f32_e32 v113, v48, v241                              // 00000000B4D0: 0AE3E330
	v_mul_f32_e32 v114, v48, v242                              // 00000000B4D4: 0AE5E530
	v_mul_f32_e32 v115, v48, v243                              // 00000000B4D8: 0AE7E730
	v_mul_f32_e32 v116, v48, v244                              // 00000000B4DC: 0AE9E930
	v_mul_f32_e32 v117, v48, v245                              // 00000000B4E0: 0AEBEB30
	v_mul_f32_e32 v118, v48, v246                              // 00000000B4E4: 0AEDED30
	v_mul_f32_e32 v119, v48, v247                              // 00000000B4E8: 0AEFEF30
	v_mul_f32_e32 v120, v48, v248                              // 00000000B4EC: 0AF1F130
	v_mul_f32_e32 v121, v48, v249                              // 00000000B4F0: 0AF3F330
	v_mul_f32_e32 v122, v48, v250                              // 00000000B4F4: 0AF5F530
	v_mul_f32_e32 v123, v48, v251                              // 00000000B4F8: 0AF7F730
	v_mul_f32_e32 v124, v48, v252                              // 00000000B4FC: 0AF9F930
	v_mul_f32_e32 v125, v48, v253                              // 00000000B500: 0AFBFB30
	v_mul_f32_e32 v126, v48, v254                              // 00000000B504: 0AFDFD30
	v_mul_f32_e32 v127, v48, v255                              // 00000000B508: 0AFFFF30
	v_cvt_i32_f32_e32 v112, v112                               // 00000000B50C: 7EE01170
	v_cvt_i32_f32_e32 v113, v113                               // 00000000B510: 7EE21171
	v_cvt_i32_f32_e32 v114, v114                               // 00000000B514: 7EE41172
	v_cvt_i32_f32_e32 v115, v115                               // 00000000B518: 7EE61173
	v_cvt_i32_f32_e32 v116, v116                               // 00000000B51C: 7EE81174
	v_cvt_i32_f32_e32 v117, v117                               // 00000000B520: 7EEA1175
	v_cvt_i32_f32_e32 v118, v118                               // 00000000B524: 7EEC1176
	v_cvt_i32_f32_e32 v119, v119                               // 00000000B528: 7EEE1177
	v_cvt_i32_f32_e32 v120, v120                               // 00000000B52C: 7EF01178
	v_cvt_i32_f32_e32 v121, v121                               // 00000000B530: 7EF21179
	v_cvt_i32_f32_e32 v122, v122                               // 00000000B534: 7EF4117A
	v_cvt_i32_f32_e32 v123, v123                               // 00000000B538: 7EF6117B
	v_cvt_i32_f32_e32 v124, v124                               // 00000000B53C: 7EF8117C
	v_cvt_i32_f32_e32 v125, v125                               // 00000000B540: 7EFA117D
	v_cvt_i32_f32_e32 v126, v126                               // 00000000B544: 7EFC117E
	v_cvt_i32_f32_e32 v127, v127                               // 00000000B548: 7EFE117F
	v_perm_b32 v112, v113, v112, s53                           // 00000000B54C: D1ED0070 00D6E171
	v_perm_b32 v112, v114, v112, s54                           // 00000000B554: D1ED0070 00DAE172
	v_perm_b32 v112, v115, v112, s55                           // 00000000B55C: D1ED0070 00DEE173
	v_perm_b32 v113, v117, v116, s53                           // 00000000B564: D1ED0071 00D6E975
	v_perm_b32 v113, v118, v113, s54                           // 00000000B56C: D1ED0071 00DAE376
	v_perm_b32 v113, v119, v113, s55                           // 00000000B574: D1ED0071 00DEE377
	v_perm_b32 v114, v121, v120, s53                           // 00000000B57C: D1ED0072 00D6F179
	v_perm_b32 v114, v122, v114, s54                           // 00000000B584: D1ED0072 00DAE57A
	v_perm_b32 v114, v123, v114, s55                           // 00000000B58C: D1ED0072 00DEE57B
	v_perm_b32 v115, v125, v124, s53                           // 00000000B594: D1ED0073 00D6F97D
	v_perm_b32 v115, v126, v115, s54                           // 00000000B59C: D1ED0073 00DAE77E
	v_perm_b32 v115, v127, v115, s55                           // 00000000B5A4: D1ED0073 00DEE77F
	ds_write_b32 v10, v112 offset:25088                        // 00000000B5AC: D81A6200 0000700A
	ds_write_b32 v10, v113 offset:26112                        // 00000000B5B4: D81A6600 0000710A
	ds_write_b32 v10, v114 offset:27136                        // 00000000B5BC: D81A6A00 0000720A
	ds_write_b32 v10, v115 offset:28160                        // 00000000B5C4: D81A6E00 0000730A
	v_add_f32_e32 v208, v208, v176                             // 00000000B5CC: 03A161D0
	v_add_f32_e32 v209, v209, v177                             // 00000000B5D0: 03A363D1
	v_add_f32_e32 v210, v210, v178                             // 00000000B5D4: 03A565D2
	v_add_f32_e32 v211, v211, v179                             // 00000000B5D8: 03A767D3
	v_add_f32_e32 v212, v212, v180                             // 00000000B5DC: 03A969D4
	v_add_f32_e32 v213, v213, v181                             // 00000000B5E0: 03AB6BD5
	v_add_f32_e32 v214, v214, v182                             // 00000000B5E4: 03AD6DD6
	v_add_f32_e32 v215, v215, v183                             // 00000000B5E8: 03AF6FD7
	v_rcp_f32_e32 v44, v48                                     // 00000000B5EC: 7E584530
	s_waitcnt lgkmcnt(0)                                       // 00000000B5F0: BF8CC07F
	s_barrier                                                  // 00000000B5F4: BF8A0000
	ds_read_b64 v[112:113], v9 offset:25088                    // 00000000B5F8: D8EC6200 70000009
	ds_read_b64 v[114:115], v9 offset:25216                    // 00000000B600: D8EC6280 72000009
	ds_read_b64 v[116:117], v9 offset:26112                    // 00000000B608: D8EC6600 74000009
	ds_read_b64 v[118:119], v9 offset:26240                    // 00000000B610: D8EC6680 76000009
	ds_read_b64 v[120:121], v9 offset:27136                    // 00000000B618: D8EC6A00 78000009
	ds_read_b64 v[122:123], v9 offset:27264                    // 00000000B620: D8EC6A80 7A000009
	ds_read_b64 v[124:125], v9 offset:28160                    // 00000000B628: D8EC6E00 7C000009
	ds_read_b64 v[126:127], v9 offset:28288                    // 00000000B630: D8EC6E80 7E000009
	v_mov_b32_dpp v64, v42 row_shr:4 row_mask:0xf bank_mask:0xf// 00000000B638: 7E8002FA FF01142A
	v_mov_b32_dpp v65, v42 row_shl:4 row_mask:0xf bank_mask:0xf// 00000000B640: 7E8202FA FF01042A
	v_cndmask_b32_e64 v248, v42, v64, s[44:45]                 // 00000000B648: D10000F8 00B2812A
	v_cndmask_b32_e64 v249, v65, v42, s[44:45]                 // 00000000B650: D10000F9 00B25541
	v_mov_b32_dpp v64, v248 row_shr:8 row_mask:0xf bank_mask:0xf// 00000000B658: 7E8002FA FF0118F8
	v_mov_b32_dpp v65, v248 row_shl:8 row_mask:0xf bank_mask:0xf// 00000000B660: 7E8202FA FF0108F8
	v_mov_b32_dpp v66, v249 row_shr:8 row_mask:0xf bank_mask:0xf// 00000000B668: 7E8402FA FF0118F9
	v_mov_b32_dpp v67, v249 row_shl:8 row_mask:0xf bank_mask:0xf// 00000000B670: 7E8602FA FF0108F9
	v_mov_b32_e32 v68, v248                                    // 00000000B678: 7E8803F8
	v_mov_b32_e32 v69, v249                                    // 00000000B67C: 7E8A03F9
	v_cndmask_b32_e64 v248, v68, v64, s[42:43]                 // 00000000B680: D10000F8 00AA8144
	v_cndmask_b32_e64 v250, v68, v65, s[78:79]                 // 00000000B688: D10000FA 013A8344
	v_cndmask_b32_e64 v249, v69, v66, s[42:43]                 // 00000000B690: D10000F9 00AA8545
	v_cndmask_b32_e64 v251, v69, v67, s[78:79]                 // 00000000B698: D10000FB 013A8745
	v_mov_b32_dpp v64, v57 row_shr:4 row_mask:0xf bank_mask:0xf// 00000000B6A0: 7E8002FA FF011439
	v_mov_b32_dpp v65, v57 row_shl:4 row_mask:0xf bank_mask:0xf// 00000000B6A8: 7E8202FA FF010439
	v_cndmask_b32_e64 v252, v57, v64, s[44:45]                 // 00000000B6B0: D10000FC 00B28139
	v_cndmask_b32_e64 v253, v65, v57, s[44:45]                 // 00000000B6B8: D10000FD 00B27341
	v_mov_b32_dpp v64, v252 row_shr:8 row_mask:0xf bank_mask:0xf// 00000000B6C0: 7E8002FA FF0118FC
	v_mov_b32_dpp v65, v252 row_shl:8 row_mask:0xf bank_mask:0xf// 00000000B6C8: 7E8202FA FF0108FC
	v_mov_b32_dpp v66, v253 row_shr:8 row_mask:0xf bank_mask:0xf// 00000000B6D0: 7E8402FA FF0118FD
	v_mov_b32_dpp v67, v253 row_shl:8 row_mask:0xf bank_mask:0xf// 00000000B6D8: 7E8602FA FF0108FD
	v_mov_b32_e32 v68, v252                                    // 00000000B6E0: 7E8803FC
	v_mov_b32_e32 v69, v253                                    // 00000000B6E4: 7E8A03FD
	v_cndmask_b32_e64 v252, v68, v64, s[42:43]                 // 00000000B6E8: D10000FC 00AA8144
	v_cndmask_b32_e64 v254, v68, v65, s[78:79]                 // 00000000B6F0: D10000FE 013A8344
	v_cndmask_b32_e64 v253, v69, v66, s[42:43]                 // 00000000B6F8: D10000FD 00AA8545
	v_cndmask_b32_e64 v255, v69, v67, s[78:79]                 // 00000000B700: D10000FF 013A8745
	v_cvt_f32_i32_e32 v128, v128                               // 00000000B708: 7F000B80
	v_cvt_f32_i32_e32 v129, v129                               // 00000000B70C: 7F020B81
	v_cvt_f32_i32_e32 v130, v130                               // 00000000B710: 7F040B82
	v_cvt_f32_i32_e32 v131, v131                               // 00000000B714: 7F060B83
	v_cvt_f32_i32_e32 v132, v132                               // 00000000B718: 7F080B84
	v_cvt_f32_i32_e32 v133, v133                               // 00000000B71C: 7F0A0B85
	v_cvt_f32_i32_e32 v134, v134                               // 00000000B720: 7F0C0B86
	v_cvt_f32_i32_e32 v135, v135                               // 00000000B724: 7F0E0B87
	v_cvt_f32_i32_e32 v136, v136                               // 00000000B728: 7F100B88
	v_cvt_f32_i32_e32 v137, v137                               // 00000000B72C: 7F120B89
	v_cvt_f32_i32_e32 v138, v138                               // 00000000B730: 7F140B8A
	v_cvt_f32_i32_e32 v139, v139                               // 00000000B734: 7F160B8B
	v_cvt_f32_i32_e32 v140, v140                               // 00000000B738: 7F180B8C
	v_cvt_f32_i32_e32 v141, v141                               // 00000000B73C: 7F1A0B8D
	v_cvt_f32_i32_e32 v142, v142                               // 00000000B740: 7F1C0B8E
	v_cvt_f32_i32_e32 v143, v143                               // 00000000B744: 7F1E0B8F
	v_mul_f32_e32 v128, v19, v128                              // 00000000B748: 0B010113
	v_mul_f32_e32 v129, v19, v129                              // 00000000B74C: 0B030313
	v_mul_f32_e32 v130, v19, v130                              // 00000000B750: 0B050513
	v_mul_f32_e32 v131, v19, v131                              // 00000000B754: 0B070713
	v_mul_f32_e32 v132, v19, v132                              // 00000000B758: 0B090913
	v_mul_f32_e32 v133, v19, v133                              // 00000000B75C: 0B0B0B13
	v_mul_f32_e32 v134, v19, v134                              // 00000000B760: 0B0D0D13
	v_mul_f32_e32 v135, v19, v135                              // 00000000B764: 0B0F0F13
	v_mul_f32_e32 v136, v19, v136                              // 00000000B768: 0B111113
	v_mul_f32_e32 v137, v19, v137                              // 00000000B76C: 0B131313
	v_mul_f32_e32 v138, v19, v138                              // 00000000B770: 0B151513
	v_mul_f32_e32 v139, v19, v139                              // 00000000B774: 0B171713
	v_mul_f32_e32 v140, v19, v140                              // 00000000B778: 0B191913
	v_mul_f32_e32 v141, v19, v141                              // 00000000B77C: 0B1B1B13
	v_mul_f32_e32 v142, v19, v142                              // 00000000B780: 0B1D1D13
	v_mul_f32_e32 v143, v19, v143                              // 00000000B784: 0B1F1F13
	v_mul_f32_dpp v128, v248, v128 quad_perm:[0,0,0,0] row_mask:0xf bank_mask:0xf// 00000000B788: 0B0100FA FF0000F8
	v_mul_f32_dpp v129, v248, v129 quad_perm:[1,1,1,1] row_mask:0xf bank_mask:0xf// 00000000B790: 0B0302FA FF0055F8
	v_mul_f32_dpp v130, v248, v130 quad_perm:[2,2,2,2] row_mask:0xf bank_mask:0xf// 00000000B798: 0B0504FA FF00AAF8
	v_mul_f32_dpp v131, v248, v131 quad_perm:[3,3,3,3] row_mask:0xf bank_mask:0xf// 00000000B7A0: 0B0706FA FF00FFF8
	v_mul_f32_dpp v132, v249, v132 quad_perm:[0,0,0,0] row_mask:0xf bank_mask:0xf// 00000000B7A8: 0B0908FA FF0000F9
	v_mul_f32_dpp v133, v249, v133 quad_perm:[1,1,1,1] row_mask:0xf bank_mask:0xf// 00000000B7B0: 0B0B0AFA FF0055F9
	v_mul_f32_dpp v134, v249, v134 quad_perm:[2,2,2,2] row_mask:0xf bank_mask:0xf// 00000000B7B8: 0B0D0CFA FF00AAF9
	v_mul_f32_dpp v135, v249, v135 quad_perm:[3,3,3,3] row_mask:0xf bank_mask:0xf// 00000000B7C0: 0B0F0EFA FF00FFF9
	v_mul_f32_dpp v136, v250, v136 quad_perm:[0,0,0,0] row_mask:0xf bank_mask:0xf// 00000000B7C8: 0B1110FA FF0000FA
	v_mul_f32_dpp v137, v250, v137 quad_perm:[1,1,1,1] row_mask:0xf bank_mask:0xf// 00000000B7D0: 0B1312FA FF0055FA
	v_mul_f32_dpp v138, v250, v138 quad_perm:[2,2,2,2] row_mask:0xf bank_mask:0xf// 00000000B7D8: 0B1514FA FF00AAFA
	v_mul_f32_dpp v139, v250, v139 quad_perm:[3,3,3,3] row_mask:0xf bank_mask:0xf// 00000000B7E0: 0B1716FA FF00FFFA
	v_mul_f32_dpp v140, v251, v140 quad_perm:[0,0,0,0] row_mask:0xf bank_mask:0xf// 00000000B7E8: 0B1918FA FF0000FB
	v_mul_f32_dpp v141, v251, v141 quad_perm:[1,1,1,1] row_mask:0xf bank_mask:0xf// 00000000B7F0: 0B1B1AFA FF0055FB
	v_mul_f32_dpp v142, v251, v142 quad_perm:[2,2,2,2] row_mask:0xf bank_mask:0xf// 00000000B7F8: 0B1D1CFA FF00AAFB
	v_mul_f32_dpp v143, v251, v143 quad_perm:[3,3,3,3] row_mask:0xf bank_mask:0xf// 00000000B800: 0B1F1EFA FF00FFFB
	s_cmp_le_i32 s90, s89                                      // 00000000B808: BF05595A
	s_cbranch_scc1 label_25F5                                  // 00000000B80C: BF850071
	v_mov_b32_e32 v66, 0xff800000                              // 00000000B810: 7E8402FF FF800000
	s_mov_b32 s60, s90                                         // 00000000B818: BEBC005A
	s_add_u32 s61, s89, 0xff                                   // 00000000B81C: 803DFF59 000000FF
	v_mov_b32_e32 v64, s61                                     // 00000000B824: 7E80023D
	v_lshrrev_b32_e32 v240, 4, v0                              // 00000000B828: 21E00084
	v_mul_i32_i24_e32 v240, 4, v240                            // 00000000B82C: 0DE1E084
	v_add_u32_e32 v240, s60, v240                              // 00000000B830: 69E1E03C
	s_mov_b32 s61, 1                                           // 00000000B834: BEBD0081
	s_mul_i32 s60, 16, s7                                      // 00000000B838: 923C0790
	v_sub_u32_e64 v240, v240, s61                              // 00000000B83C: D13500F0 00007BF0
	v_add_u32_e32 v240, s60, v240                              // 00000000B844: 69E1E03C
	v_add_u32_e32 v241, 1, v240                                // 00000000B848: 69E3E081
	v_add_u32_e32 v242, 2, v240                                // 00000000B84C: 69E5E082
	v_add_u32_e32 v243, 3, v240                                // 00000000B850: 69E7E083
	v_cmp_le_u32_e64 s[40:41], v240, v64                       // 00000000B854: D0CB0028 000281F0
	v_add_u32_e32 v240, 64, v240                               // 00000000B85C: 69E1E0C0
	s_nop 0                                                    // 00000000B860: BF800000
	v_cndmask_b32_e64 v128, v66, v128, s[40:41]                // 00000000B864: D1000080 00A30142
	v_cmp_le_u32_e64 s[40:41], v241, v64                       // 00000000B86C: D0CB0028 000281F1
	v_add_u32_e32 v241, 64, v241                               // 00000000B874: 69E3E2C0
	s_nop 0                                                    // 00000000B878: BF800000
	v_cndmask_b32_e64 v129, v66, v129, s[40:41]                // 00000000B87C: D1000081 00A30342
	v_cmp_le_u32_e64 s[40:41], v242, v64                       // 00000000B884: D0CB0028 000281F2
	v_add_u32_e32 v242, 64, v242                               // 00000000B88C: 69E5E4C0
	s_nop 0                                                    // 00000000B890: BF800000
	v_cndmask_b32_e64 v130, v66, v130, s[40:41]                // 00000000B894: D1000082 00A30542
	v_cmp_le_u32_e64 s[40:41], v243, v64                       // 00000000B89C: D0CB0028 000281F3
	v_add_u32_e32 v243, 64, v243                               // 00000000B8A4: 69E7E6C0
	s_nop 0                                                    // 00000000B8A8: BF800000
	v_cndmask_b32_e64 v131, v66, v131, s[40:41]                // 00000000B8AC: D1000083 00A30742
	v_cmp_le_u32_e64 s[40:41], v240, v64                       // 00000000B8B4: D0CB0028 000281F0
	v_add_u32_e32 v240, 64, v240                               // 00000000B8BC: 69E1E0C0
	s_nop 0                                                    // 00000000B8C0: BF800000
	v_cndmask_b32_e64 v132, v66, v132, s[40:41]                // 00000000B8C4: D1000084 00A30942
	v_cmp_le_u32_e64 s[40:41], v241, v64                       // 00000000B8CC: D0CB0028 000281F1
	v_add_u32_e32 v241, 64, v241                               // 00000000B8D4: 69E3E2C0
	s_nop 0                                                    // 00000000B8D8: BF800000
	v_cndmask_b32_e64 v133, v66, v133, s[40:41]                // 00000000B8DC: D1000085 00A30B42
	v_cmp_le_u32_e64 s[40:41], v242, v64                       // 00000000B8E4: D0CB0028 000281F2
	v_add_u32_e32 v242, 64, v242                               // 00000000B8EC: 69E5E4C0
	s_nop 0                                                    // 00000000B8F0: BF800000
	v_cndmask_b32_e64 v134, v66, v134, s[40:41]                // 00000000B8F4: D1000086 00A30D42
	v_cmp_le_u32_e64 s[40:41], v243, v64                       // 00000000B8FC: D0CB0028 000281F3
	v_add_u32_e32 v243, 64, v243                               // 00000000B904: 69E7E6C0
	s_nop 0                                                    // 00000000B908: BF800000
	v_cndmask_b32_e64 v135, v66, v135, s[40:41]                // 00000000B90C: D1000087 00A30F42
	v_cmp_le_u32_e64 s[40:41], v240, v64                       // 00000000B914: D0CB0028 000281F0
	v_add_u32_e32 v240, 64, v240                               // 00000000B91C: 69E1E0C0
	s_nop 0                                                    // 00000000B920: BF800000
	v_cndmask_b32_e64 v136, v66, v136, s[40:41]                // 00000000B924: D1000088 00A31142
	v_cmp_le_u32_e64 s[40:41], v241, v64                       // 00000000B92C: D0CB0028 000281F1
	v_add_u32_e32 v241, 64, v241                               // 00000000B934: 69E3E2C0
	s_nop 0                                                    // 00000000B938: BF800000
	v_cndmask_b32_e64 v137, v66, v137, s[40:41]                // 00000000B93C: D1000089 00A31342
	v_cmp_le_u32_e64 s[40:41], v242, v64                       // 00000000B944: D0CB0028 000281F2
	v_add_u32_e32 v242, 64, v242                               // 00000000B94C: 69E5E4C0
	s_nop 0                                                    // 00000000B950: BF800000
	v_cndmask_b32_e64 v138, v66, v138, s[40:41]                // 00000000B954: D100008A 00A31542
	v_cmp_le_u32_e64 s[40:41], v243, v64                       // 00000000B95C: D0CB0028 000281F3
	v_add_u32_e32 v243, 64, v243                               // 00000000B964: 69E7E6C0
	s_nop 0                                                    // 00000000B968: BF800000
	v_cndmask_b32_e64 v139, v66, v139, s[40:41]                // 00000000B96C: D100008B 00A31742
	v_cmp_le_u32_e64 s[40:41], v240, v64                       // 00000000B974: D0CB0028 000281F0
	v_add_u32_e32 v240, 64, v240                               // 00000000B97C: 69E1E0C0
	s_nop 0                                                    // 00000000B980: BF800000
	v_cndmask_b32_e64 v140, v66, v140, s[40:41]                // 00000000B984: D100008C 00A31942
	v_cmp_le_u32_e64 s[40:41], v241, v64                       // 00000000B98C: D0CB0028 000281F1
	v_add_u32_e32 v241, 64, v241                               // 00000000B994: 69E3E2C0
	s_nop 0                                                    // 00000000B998: BF800000
	v_cndmask_b32_e64 v141, v66, v141, s[40:41]                // 00000000B99C: D100008D 00A31B42
	v_cmp_le_u32_e64 s[40:41], v242, v64                       // 00000000B9A4: D0CB0028 000281F2
	v_add_u32_e32 v242, 64, v242                               // 00000000B9AC: 69E5E4C0
	s_nop 0                                                    // 00000000B9B0: BF800000
	v_cndmask_b32_e64 v142, v66, v142, s[40:41]                // 00000000B9B4: D100008E 00A31D42
	v_cmp_le_u32_e64 s[40:41], v243, v64                       // 00000000B9BC: D0CB0028 000281F3
	v_add_u32_e32 v243, 64, v243                               // 00000000B9C4: 69E7E6C0
	s_nop 0                                                    // 00000000B9C8: BF800000
	v_cndmask_b32_e64 v143, v66, v143, s[40:41]                // 00000000B9CC: D100008F 00A31F42

000000000000b9d4 <label_25F5>:
	s_add_u32 s90, s91, s90                                    // 00000000B9D4: 805A5A5B
	v_mov_b32_e32 v48, v128                                    // 00000000B9D8: 7E600380
	v_max3_f32 v48, v128, v129, v48                            // 00000000B9DC: D1D30030 04C30380
	v_max3_f32 v48, v130, v131, v48                            // 00000000B9E4: D1D30030 04C30782
	v_max3_f32 v48, v132, v133, v48                            // 00000000B9EC: D1D30030 04C30B84
	v_max3_f32 v48, v134, v135, v48                            // 00000000B9F4: D1D30030 04C30F86
	v_max3_f32 v48, v136, v137, v48                            // 00000000B9FC: D1D30030 04C31388
	v_max3_f32 v48, v138, v139, v48                            // 00000000BA04: D1D30030 04C3178A
	v_max3_f32 v48, v140, v141, v48                            // 00000000BA0C: D1D30030 04C31B8C
	v_max3_f32 v48, v142, v143, v48                            // 00000000BA14: D1D30030 04C31F8E
	ds_write_b32 v8, v48 offset:16896                          // 00000000BA1C: D81A4200 00003008
	v_mul_f32_e32 v216, v50, v216                              // 00000000BA24: 0BB1B132
	v_mul_f32_e32 v217, v50, v217                              // 00000000BA28: 0BB3B332
	v_mul_f32_e32 v218, v50, v218                              // 00000000BA2C: 0BB5B532
	v_mul_f32_e32 v219, v50, v219                              // 00000000BA30: 0BB7B732
	v_mul_f32_e32 v220, v50, v220                              // 00000000BA34: 0BB9B932
	v_mul_f32_e32 v221, v50, v221                              // 00000000BA38: 0BBBBB32
	v_mul_f32_e32 v222, v50, v222                              // 00000000BA3C: 0BBDBD32
	v_mul_f32_e32 v223, v50, v223                              // 00000000BA40: 0BBFBF32
	s_waitcnt lgkmcnt(0)                                       // 00000000BA44: BF8CC07F
	s_barrier                                                  // 00000000BA48: BF8A0000
	ds_read_b32 v64, v7 offset:16896                           // 00000000BA4C: D86C4200 40000007
	ds_read_b32 v65, v7 offset:16960                           // 00000000BA54: D86C4240 41000007
	ds_read_b32 v66, v7 offset:17024                           // 00000000BA5C: D86C4280 42000007
	ds_read_b32 v67, v7 offset:17088                           // 00000000BA64: D86C42C0 43000007
	ds_read_b32 v68, v7 offset:17152                           // 00000000BA6C: D86C4300 44000007
	ds_read_b32 v69, v7 offset:17216                           // 00000000BA74: D86C4340 45000007
	ds_read_b32 v70, v7 offset:17280                           // 00000000BA7C: D86C4380 46000007
	ds_read_b32 v71, v7 offset:17344                           // 00000000BA84: D86C43C0 47000007
	ds_read_b32 v72, v7 offset:17408                           // 00000000BA8C: D86C4400 48000007
	ds_read_b32 v73, v7 offset:17472                           // 00000000BA94: D86C4440 49000007
	ds_read_b32 v74, v7 offset:17536                           // 00000000BA9C: D86C4480 4A000007
	ds_read_b32 v75, v7 offset:17600                           // 00000000BAA4: D86C44C0 4B000007
	ds_read_b32 v76, v7 offset:17664                           // 00000000BAAC: D86C4500 4C000007
	ds_read_b32 v77, v7 offset:17728                           // 00000000BAB4: D86C4540 4D000007
	ds_read_b32 v78, v7 offset:17792                           // 00000000BABC: D86C4580 4E000007
	ds_read_b32 v79, v7 offset:17856                           // 00000000BAC4: D86C45C0 4F000007
	v_cvt_f32_i32_e32 v184, v184                               // 00000000BACC: 7F700BB8
	v_cvt_f32_i32_e32 v185, v185                               // 00000000BAD0: 7F720BB9
	v_cvt_f32_i32_e32 v186, v186                               // 00000000BAD4: 7F740BBA
	v_cvt_f32_i32_e32 v187, v187                               // 00000000BAD8: 7F760BBB
	v_cvt_f32_i32_e32 v188, v188                               // 00000000BADC: 7F780BBC
	v_cvt_f32_i32_e32 v189, v189                               // 00000000BAE0: 7F7A0BBD
	v_cvt_f32_i32_e32 v190, v190                               // 00000000BAE4: 7F7C0BBE
	v_cvt_f32_i32_e32 v191, v191                               // 00000000BAE8: 7F7E0BBF
	v_mul_f32_e32 v184, v45, v184                              // 00000000BAEC: 0B71712D
	v_mul_f32_e32 v185, v45, v185                              // 00000000BAF0: 0B73732D
	v_mul_f32_e32 v186, v45, v186                              // 00000000BAF4: 0B75752D
	v_mul_f32_e32 v187, v45, v187                              // 00000000BAF8: 0B77772D
	v_mul_f32_e32 v188, v45, v188                              // 00000000BAFC: 0B79792D
	v_mul_f32_e32 v189, v45, v189                              // 00000000BB00: 0B7B7B2D
	v_mul_f32_e32 v190, v45, v190                              // 00000000BB04: 0B7D7D2D
	v_mul_f32_e32 v191, v45, v191                              // 00000000BB08: 0B7F7F2D
	s_waitcnt lgkmcnt(0)                                       // 00000000BB0C: BF8CC07F
	v_max3_f32 v48, v64, v65, v48                              // 00000000BB10: D1D30030 04C28340
	v_max3_f32 v48, v66, v67, v48                              // 00000000BB18: D1D30030 04C28742
	v_max3_f32 v48, v68, v69, v48                              // 00000000BB20: D1D30030 04C28B44
	v_max3_f32 v48, v70, v71, v48                              // 00000000BB28: D1D30030 04C28F46
	v_max3_f32 v48, v72, v73, v48                              // 00000000BB30: D1D30030 04C29348
	v_max3_f32 v48, v74, v75, v48                              // 00000000BB38: D1D30030 04C2974A
	v_max3_f32 v48, v76, v77, v48                              // 00000000BB40: D1D30030 04C29B4C
	v_max3_f32 v48, v78, v79, v48                              // 00000000BB48: D1D30030 04C29F4E
	v_mov_b32_e32 v64, 0xff800000                              // 00000000BB50: 7E8002FF FF800000
	v_cmp_eq_u32_e64 s[40:41], v64, v12                        // 00000000BB58: D0CA0028 00021940
	s_nop 1                                                    // 00000000BB60: BF800001
	v_max_f32_e32 v15, v48, v12                                // 00000000BB64: 161E1930
	v_mul_f32_e32 v53, s64, v15                                // 00000000BB68: 0A6A1E40
	v_fma_f32 v128, v128, s64, -v53                            // 00000000BB6C: D1CB0080 84D48180
	v_fma_f32 v129, v129, s64, -v53                            // 00000000BB74: D1CB0081 84D48181
	v_fma_f32 v130, v130, s64, -v53                            // 00000000BB7C: D1CB0082 84D48182
	v_fma_f32 v131, v131, s64, -v53                            // 00000000BB84: D1CB0083 84D48183
	v_fma_f32 v132, v132, s64, -v53                            // 00000000BB8C: D1CB0084 84D48184
	v_fma_f32 v133, v133, s64, -v53                            // 00000000BB94: D1CB0085 84D48185
	v_fma_f32 v134, v134, s64, -v53                            // 00000000BB9C: D1CB0086 84D48186
	v_fma_f32 v135, v135, s64, -v53                            // 00000000BBA4: D1CB0087 84D48187
	v_fma_f32 v136, v136, s64, -v53                            // 00000000BBAC: D1CB0088 84D48188
	v_fma_f32 v137, v137, s64, -v53                            // 00000000BBB4: D1CB0089 84D48189
	v_fma_f32 v138, v138, s64, -v53                            // 00000000BBBC: D1CB008A 84D4818A
	v_fma_f32 v139, v139, s64, -v53                            // 00000000BBC4: D1CB008B 84D4818B
	v_fma_f32 v140, v140, s64, -v53                            // 00000000BBCC: D1CB008C 84D4818C
	v_fma_f32 v141, v141, s64, -v53                            // 00000000BBD4: D1CB008D 84D4818D
	v_fma_f32 v142, v142, s64, -v53                            // 00000000BBDC: D1CB008E 84D4818E
	v_fma_f32 v143, v143, s64, -v53                            // 00000000BBE4: D1CB008F 84D4818F
	v_exp_f32_e32 v128, v128                                   // 00000000BBEC: 7F004180
	v_exp_f32_e32 v129, v129                                   // 00000000BBF0: 7F024181
	v_exp_f32_e32 v130, v130                                   // 00000000BBF4: 7F044182
	v_exp_f32_e32 v131, v131                                   // 00000000BBF8: 7F064183
	v_exp_f32_e32 v132, v132                                   // 00000000BBFC: 7F084184
	v_exp_f32_e32 v133, v133                                   // 00000000BC00: 7F0A4185
	v_exp_f32_e32 v134, v134                                   // 00000000BC04: 7F0C4186
	v_exp_f32_e32 v135, v135                                   // 00000000BC08: 7F0E4187
	v_exp_f32_e32 v136, v136                                   // 00000000BC0C: 7F104188
	v_exp_f32_e32 v137, v137                                   // 00000000BC10: 7F124189
	v_exp_f32_e32 v138, v138                                   // 00000000BC14: 7F14418A
	v_exp_f32_e32 v139, v139                                   // 00000000BC18: 7F16418B
	v_exp_f32_e32 v140, v140                                   // 00000000BC1C: 7F18418C
	v_exp_f32_e32 v141, v141                                   // 00000000BC20: 7F1A418D
	v_exp_f32_e32 v142, v142                                   // 00000000BC24: 7F1C418E
	v_exp_f32_e32 v143, v143                                   // 00000000BC28: 7F1E418F
	v_mul_f32_dpp v240, v252, v128 quad_perm:[0,0,0,0] row_mask:0xf bank_mask:0xf// 00000000BC2C: 0BE100FA FF0000FC
	v_mul_f32_dpp v241, v252, v129 quad_perm:[1,1,1,1] row_mask:0xf bank_mask:0xf// 00000000BC34: 0BE302FA FF0055FC
	v_mul_f32_dpp v242, v252, v130 quad_perm:[2,2,2,2] row_mask:0xf bank_mask:0xf// 00000000BC3C: 0BE504FA FF00AAFC
	v_mul_f32_dpp v243, v252, v131 quad_perm:[3,3,3,3] row_mask:0xf bank_mask:0xf// 00000000BC44: 0BE706FA FF00FFFC
	v_mul_f32_dpp v244, v253, v132 quad_perm:[0,0,0,0] row_mask:0xf bank_mask:0xf// 00000000BC4C: 0BE908FA FF0000FD
	v_mul_f32_dpp v245, v253, v133 quad_perm:[1,1,1,1] row_mask:0xf bank_mask:0xf// 00000000BC54: 0BEB0AFA FF0055FD
	v_mul_f32_dpp v246, v253, v134 quad_perm:[2,2,2,2] row_mask:0xf bank_mask:0xf// 00000000BC5C: 0BED0CFA FF00AAFD
	v_mul_f32_dpp v247, v253, v135 quad_perm:[3,3,3,3] row_mask:0xf bank_mask:0xf// 00000000BC64: 0BEF0EFA FF00FFFD
	v_mul_f32_dpp v248, v254, v136 quad_perm:[0,0,0,0] row_mask:0xf bank_mask:0xf// 00000000BC6C: 0BF110FA FF0000FE
	v_mul_f32_dpp v249, v254, v137 quad_perm:[1,1,1,1] row_mask:0xf bank_mask:0xf// 00000000BC74: 0BF312FA FF0055FE
	v_mul_f32_dpp v250, v254, v138 quad_perm:[2,2,2,2] row_mask:0xf bank_mask:0xf// 00000000BC7C: 0BF514FA FF00AAFE
	v_mul_f32_dpp v251, v254, v139 quad_perm:[3,3,3,3] row_mask:0xf bank_mask:0xf// 00000000BC84: 0BF716FA FF00FFFE
	v_mul_f32_dpp v252, v255, v140 quad_perm:[0,0,0,0] row_mask:0xf bank_mask:0xf// 00000000BC8C: 0BF918FA FF0000FF
	v_mul_f32_dpp v253, v255, v141 quad_perm:[1,1,1,1] row_mask:0xf bank_mask:0xf// 00000000BC94: 0BFB1AFA FF0055FF
	v_mul_f32_dpp v254, v255, v142 quad_perm:[2,2,2,2] row_mask:0xf bank_mask:0xf// 00000000BC9C: 0BFD1CFA FF00AAFF
	v_mul_f32_dpp v255, v255, v143 quad_perm:[3,3,3,3] row_mask:0xf bank_mask:0xf// 00000000BCA4: 0BFF1EFA FF00FFFF
	v_mov_b32_e32 v48, 0x358637bd                              // 00000000BCAC: 7E6002FF 358637BD
	v_max3_f32 v48, |v240|, |v241|, v48                        // 00000000BCB4: D1D30330 04C3E3F0
	v_max3_f32 v48, |v242|, |v243|, v48                        // 00000000BCBC: D1D30330 04C3E7F2
	v_max3_f32 v48, |v244|, |v245|, v48                        // 00000000BCC4: D1D30330 04C3EBF4
	v_max3_f32 v48, |v246|, |v247|, v48                        // 00000000BCCC: D1D30330 04C3EFF6
	v_max3_f32 v48, |v248|, |v249|, v48                        // 00000000BCD4: D1D30330 04C3F3F8
	v_max3_f32 v48, |v250|, |v251|, v48                        // 00000000BCDC: D1D30330 04C3F7FA
	v_max3_f32 v48, |v252|, |v253|, v48                        // 00000000BCE4: D1D30330 04C3FBFC
	v_max3_f32 v48, |v254|, |v255|, v48                        // 00000000BCEC: D1D30330 04C3FFFE
	ds_write_b32 v8, v48 offset:20992                          // 00000000BCF4: D81A5200 00003008
	v_sub_f32_e32 v50, v12, v15                                // 00000000BCFC: 04641F0C
	v_cndmask_b32_e64 v50, v50, 0, s[40:41]                    // 00000000BD00: D1000032 00A10132
	v_mov_b32_e32 v12, v15                                     // 00000000BD08: 7E18030F
	v_mul_f32_e32 v50, s64, v50                                // 00000000BD0C: 0A646440
	v_exp_f32_e32 v50, v50                                     // 00000000BD10: 7E644132
	s_waitcnt lgkmcnt(0)                                       // 00000000BD14: BF8CC07F
	s_barrier                                                  // 00000000BD18: BF8A0000
	ds_read_b32 v64, v7 offset:20992                           // 00000000BD1C: D86C5200 40000007
	ds_read_b32 v65, v7 offset:21056                           // 00000000BD24: D86C5240 41000007
	ds_read_b32 v66, v7 offset:21120                           // 00000000BD2C: D86C5280 42000007
	ds_read_b32 v67, v7 offset:21184                           // 00000000BD34: D86C52C0 43000007
	ds_read_b32 v68, v7 offset:21248                           // 00000000BD3C: D86C5300 44000007
	ds_read_b32 v69, v7 offset:21312                           // 00000000BD44: D86C5340 45000007
	ds_read_b32 v70, v7 offset:21376                           // 00000000BD4C: D86C5380 46000007
	ds_read_b32 v71, v7 offset:21440                           // 00000000BD54: D86C53C0 47000007
	ds_read_b32 v72, v7 offset:21504                           // 00000000BD5C: D86C5400 48000007
	ds_read_b32 v73, v7 offset:21568                           // 00000000BD64: D86C5440 49000007
	ds_read_b32 v74, v7 offset:21632                           // 00000000BD6C: D86C5480 4A000007
	ds_read_b32 v75, v7 offset:21696                           // 00000000BD74: D86C54C0 4B000007
	ds_read_b32 v76, v7 offset:21760                           // 00000000BD7C: D86C5500 4C000007
	ds_read_b32 v77, v7 offset:21824                           // 00000000BD84: D86C5540 4D000007
	ds_read_b32 v78, v7 offset:21888                           // 00000000BD8C: D86C5580 4E000007
	ds_read_b32 v79, v7 offset:21952                           // 00000000BD94: D86C55C0 4F000007
	v_mul_f32_e32 v39, v50, v39                                // 00000000BD9C: 0A4E4F32
	v_mov_b32_e32 v15, v128                                    // 00000000BDA0: 7E1E0380
	v_add_f32_e32 v15, v129, v15                               // 00000000BDA4: 021E1F81
	v_add_f32_e32 v15, v130, v15                               // 00000000BDA8: 021E1F82
	v_add_f32_e32 v15, v131, v15                               // 00000000BDAC: 021E1F83
	v_add_f32_e32 v15, v132, v15                               // 00000000BDB0: 021E1F84
	v_add_f32_e32 v15, v133, v15                               // 00000000BDB4: 021E1F85
	v_add_f32_e32 v15, v134, v15                               // 00000000BDB8: 021E1F86
	v_add_f32_e32 v15, v135, v15                               // 00000000BDBC: 021E1F87
	v_add_f32_e32 v15, v136, v15                               // 00000000BDC0: 021E1F88
	v_add_f32_e32 v15, v137, v15                               // 00000000BDC4: 021E1F89
	v_add_f32_e32 v15, v138, v15                               // 00000000BDC8: 021E1F8A
	v_add_f32_e32 v15, v139, v15                               // 00000000BDCC: 021E1F8B
	v_add_f32_e32 v15, v140, v15                               // 00000000BDD0: 021E1F8C
	v_add_f32_e32 v15, v141, v15                               // 00000000BDD4: 021E1F8D
	v_add_f32_e32 v15, v142, v15                               // 00000000BDD8: 021E1F8E
	v_add_f32_e32 v15, v143, v15                               // 00000000BDDC: 021E1F8F
	v_add_f32_e32 v39, v15, v39                                // 00000000BDE0: 024E4F0F
	s_waitcnt lgkmcnt(0)                                       // 00000000BDE4: BF8CC07F
	v_max3_f32 v48, |v64|, |v65|, v48                          // 00000000BDE8: D1D30330 04C28340
	v_max3_f32 v48, |v66|, |v67|, v48                          // 00000000BDF0: D1D30330 04C28742
	v_max3_f32 v48, |v68|, |v69|, v48                          // 00000000BDF8: D1D30330 04C28B44
	v_max3_f32 v48, |v70|, |v71|, v48                          // 00000000BE00: D1D30330 04C28F46
	v_max3_f32 v48, |v72|, |v73|, v48                          // 00000000BE08: D1D30330 04C29348
	v_max3_f32 v48, |v74|, |v75|, v48                          // 00000000BE10: D1D30330 04C2974A
	v_max3_f32 v48, |v76|, |v77|, v48                          // 00000000BE18: D1D30330 04C29B4C
	v_max3_f32 v48, |v78|, |v79|, v48                          // 00000000BE20: D1D30330 04C29F4E
	s_nop 2                                                    // 00000000BE28: BF800002
	v_rcp_f32_e32 v48, v48                                     // 00000000BE2C: 7E604530
	s_nop 1                                                    // 00000000BE30: BF800001
	v_mul_f32_e32 v48, 0x42fe0000, v48                         // 00000000BE34: 0A6060FF 42FE0000
	v_mul_f32_e32 v128, v48, v240                              // 00000000BE3C: 0B01E130
	v_mul_f32_e32 v129, v48, v241                              // 00000000BE40: 0B03E330
	v_mul_f32_e32 v130, v48, v242                              // 00000000BE44: 0B05E530
	v_mul_f32_e32 v131, v48, v243                              // 00000000BE48: 0B07E730
	v_mul_f32_e32 v132, v48, v244                              // 00000000BE4C: 0B09E930
	v_mul_f32_e32 v133, v48, v245                              // 00000000BE50: 0B0BEB30
	v_mul_f32_e32 v134, v48, v246                              // 00000000BE54: 0B0DED30
	v_mul_f32_e32 v135, v48, v247                              // 00000000BE58: 0B0FEF30
	v_mul_f32_e32 v136, v48, v248                              // 00000000BE5C: 0B11F130
	v_mul_f32_e32 v137, v48, v249                              // 00000000BE60: 0B13F330
	v_mul_f32_e32 v138, v48, v250                              // 00000000BE64: 0B15F530
	v_mul_f32_e32 v139, v48, v251                              // 00000000BE68: 0B17F730
	v_mul_f32_e32 v140, v48, v252                              // 00000000BE6C: 0B19F930
	v_mul_f32_e32 v141, v48, v253                              // 00000000BE70: 0B1BFB30
	v_mul_f32_e32 v142, v48, v254                              // 00000000BE74: 0B1DFD30
	v_mul_f32_e32 v143, v48, v255                              // 00000000BE78: 0B1FFF30
	v_cvt_i32_f32_e32 v128, v128                               // 00000000BE7C: 7F001180
	v_cvt_i32_f32_e32 v129, v129                               // 00000000BE80: 7F021181
	v_cvt_i32_f32_e32 v130, v130                               // 00000000BE84: 7F041182
	v_cvt_i32_f32_e32 v131, v131                               // 00000000BE88: 7F061183
	v_cvt_i32_f32_e32 v132, v132                               // 00000000BE8C: 7F081184
	v_cvt_i32_f32_e32 v133, v133                               // 00000000BE90: 7F0A1185
	v_cvt_i32_f32_e32 v134, v134                               // 00000000BE94: 7F0C1186
	v_cvt_i32_f32_e32 v135, v135                               // 00000000BE98: 7F0E1187
	v_cvt_i32_f32_e32 v136, v136                               // 00000000BE9C: 7F101188
	v_cvt_i32_f32_e32 v137, v137                               // 00000000BEA0: 7F121189
	v_cvt_i32_f32_e32 v138, v138                               // 00000000BEA4: 7F14118A
	v_cvt_i32_f32_e32 v139, v139                               // 00000000BEA8: 7F16118B
	v_cvt_i32_f32_e32 v140, v140                               // 00000000BEAC: 7F18118C
	v_cvt_i32_f32_e32 v141, v141                               // 00000000BEB0: 7F1A118D
	v_cvt_i32_f32_e32 v142, v142                               // 00000000BEB4: 7F1C118E
	v_cvt_i32_f32_e32 v143, v143                               // 00000000BEB8: 7F1E118F
	v_perm_b32 v128, v129, v128, s53                           // 00000000BEBC: D1ED0080 00D70181
	v_perm_b32 v128, v130, v128, s54                           // 00000000BEC4: D1ED0080 00DB0182
	v_perm_b32 v128, v131, v128, s55                           // 00000000BECC: D1ED0080 00DF0183
	v_perm_b32 v129, v133, v132, s53                           // 00000000BED4: D1ED0081 00D70985
	v_perm_b32 v129, v134, v129, s54                           // 00000000BEDC: D1ED0081 00DB0386
	v_perm_b32 v129, v135, v129, s55                           // 00000000BEE4: D1ED0081 00DF0387
	v_perm_b32 v130, v137, v136, s53                           // 00000000BEEC: D1ED0082 00D71189
	v_perm_b32 v130, v138, v130, s54                           // 00000000BEF4: D1ED0082 00DB058A
	v_perm_b32 v130, v139, v130, s55                           // 00000000BEFC: D1ED0082 00DF058B
	v_perm_b32 v131, v141, v140, s53                           // 00000000BF04: D1ED0083 00D7198D
	v_perm_b32 v131, v142, v131, s54                           // 00000000BF0C: D1ED0083 00DB078E
	v_perm_b32 v131, v143, v131, s55                           // 00000000BF14: D1ED0083 00DF078F
	ds_write_b32 v10, v128 offset:29184                        // 00000000BF1C: D81A7200 0000800A
	ds_write_b32 v10, v129 offset:30208                        // 00000000BF24: D81A7600 0000810A
	ds_write_b32 v10, v130 offset:31232                        // 00000000BF2C: D81A7A00 0000820A
	ds_write_b32 v10, v131 offset:32256                        // 00000000BF34: D81A7E00 0000830A
	v_add_f32_e32 v216, v216, v184                             // 00000000BF3C: 03B171D8
	v_add_f32_e32 v217, v217, v185                             // 00000000BF40: 03B373D9
	v_add_f32_e32 v218, v218, v186                             // 00000000BF44: 03B575DA
	v_add_f32_e32 v219, v219, v187                             // 00000000BF48: 03B777DB
	v_add_f32_e32 v220, v220, v188                             // 00000000BF4C: 03B979DC
	v_add_f32_e32 v221, v221, v189                             // 00000000BF50: 03BB7BDD
	v_add_f32_e32 v222, v222, v190                             // 00000000BF54: 03BD7DDE
	v_add_f32_e32 v223, v223, v191                             // 00000000BF58: 03BF7FDF
	v_rcp_f32_e32 v45, v48                                     // 00000000BF5C: 7E5A4530
	s_waitcnt lgkmcnt(0)                                       // 00000000BF60: BF8CC07F
	s_barrier                                                  // 00000000BF64: BF8A0000
	ds_read_b64 v[128:129], v9 offset:29184                    // 00000000BF68: D8EC7200 80000009
	ds_read_b64 v[130:131], v9 offset:29312                    // 00000000BF70: D8EC7280 82000009
	ds_read_b64 v[132:133], v9 offset:30208                    // 00000000BF78: D8EC7600 84000009
	ds_read_b64 v[134:135], v9 offset:30336                    // 00000000BF80: D8EC7680 86000009
	ds_read_b64 v[136:137], v9 offset:31232                    // 00000000BF88: D8EC7A00 88000009
	ds_read_b64 v[138:139], v9 offset:31360                    // 00000000BF90: D8EC7A80 8A000009
	ds_read_b64 v[140:141], v9 offset:32256                    // 00000000BF98: D8EC7E00 8C000009
	ds_read_b64 v[142:143], v9 offset:32384                    // 00000000BFA0: D8EC7E80 8E000009
	s_waitcnt vmcnt(15)                                        // 00000000BFA8: BF8C0F7F
	v_mfma_i32_16x16x32_i8 v[176:179], a[64:65], v[112:113], 0 // 00000000BFAC: D3D700B0 0A02E140
	buffer_load_dwordx4 a[112:115], v34, s[20:23], 0 offen offset:1024// 00000000BFB4: E05C1400 80857022
	v_mfma_i32_16x16x32_i8 v[176:179], a[66:67], v[114:115], v[176:179]// 00000000BFBC: D3D700B0 0EC2E542
	v_mfma_i32_16x16x32_i8 v[176:179], a[68:69], v[116:117], v[176:179]// 00000000BFC4: D3D700B0 0EC2E944
	v_mfma_i32_16x16x32_i8 v[176:179], a[70:71], v[118:119], v[176:179]// 00000000BFCC: D3D700B0 0EC2ED46
	v_mfma_i32_16x16x32_i8 v[176:179], a[72:73], v[120:121], v[176:179]// 00000000BFD4: D3D700B0 0EC2F148
	buffer_load_dwordx4 a[116:119], v35, s[20:23], 0 offen offset:1024// 00000000BFDC: E05C1400 80857423
	v_mfma_i32_16x16x32_i8 v[176:179], a[74:75], v[122:123], v[176:179]// 00000000BFE4: D3D700B0 0EC2F54A
	v_mfma_i32_16x16x32_i8 v[176:179], a[76:77], v[124:125], v[176:179]// 00000000BFEC: D3D700B0 0EC2F94C
	v_mfma_i32_16x16x32_i8 v[176:179], a[78:79], v[126:127], v[176:179]// 00000000BFF4: D3D700B0 0EC2FD4E
	v_mfma_i32_16x16x32_i8 v[180:183], a[80:81], v[112:113], 0 // 00000000BFFC: D3D700B4 0A02E150
	buffer_load_dwordx4 a[120:123], v36, s[20:23], 0 offen offset:1024// 00000000C004: E05C1400 80857824
	v_mfma_i32_16x16x32_i8 v[180:183], a[82:83], v[114:115], v[180:183]// 00000000C00C: D3D700B4 0ED2E552
	v_mfma_i32_16x16x32_i8 v[180:183], a[84:85], v[116:117], v[180:183]// 00000000C014: D3D700B4 0ED2E954
	v_mfma_i32_16x16x32_i8 v[180:183], a[86:87], v[118:119], v[180:183]// 00000000C01C: D3D700B4 0ED2ED56
	v_mfma_i32_16x16x32_i8 v[180:183], a[88:89], v[120:121], v[180:183]// 00000000C024: D3D700B4 0ED2F158
	buffer_load_dwordx4 a[124:127], v37, s[20:23], 0 offen offset:1024// 00000000C02C: E05C1400 80857C25
	v_mfma_i32_16x16x32_i8 v[180:183], a[90:91], v[122:123], v[180:183]// 00000000C034: D3D700B4 0ED2F55A
	v_mfma_i32_16x16x32_i8 v[180:183], a[92:93], v[124:125], v[180:183]// 00000000C03C: D3D700B4 0ED2F95C
	s_lshr_b32 s57, s70, 4                                     // 00000000C044: 8F398446
	s_add_u32 s57, 48, s57                                     // 00000000C048: 803939B0
	v_mfma_i32_16x16x32_i8 v[180:183], a[94:95], v[126:127], v[180:183]// 00000000C04C: D3D700B4 0ED2FD5E
	s_cmp_ge_u32 s57, s73                                      // 00000000C054: BF094939
	s_cselect_b32 s56, 0, s56                                  // 00000000C058: 85383880
	v_mfma_i32_16x16x32_i8 v[184:187], a[64:65], v[128:129], 0 // 00000000C05C: D3D700B8 0A030140
	v_mfma_i32_16x16x32_i8 v[184:187], a[66:67], v[130:131], v[184:187]// 00000000C064: D3D700B8 0EE30542
	v_mfma_i32_16x16x32_i8 v[184:187], a[68:69], v[132:133], v[184:187]// 00000000C06C: D3D700B8 0EE30944
	v_mfma_i32_16x16x32_i8 v[184:187], a[70:71], v[134:135], v[184:187]// 00000000C074: D3D700B8 0EE30D46
	v_mfma_i32_16x16x32_i8 v[184:187], a[72:73], v[136:137], v[184:187]// 00000000C07C: D3D700B8 0EE31148
	v_mfma_i32_16x16x32_i8 v[184:187], a[74:75], v[138:139], v[184:187]// 00000000C084: D3D700B8 0EE3154A
	v_mfma_i32_16x16x32_i8 v[184:187], a[76:77], v[140:141], v[184:187]// 00000000C08C: D3D700B8 0EE3194C
	v_mfma_i32_16x16x32_i8 v[184:187], a[78:79], v[142:143], v[184:187]// 00000000C094: D3D700B8 0EE31D4E
	v_mfma_i32_16x16x32_i8 v[188:191], a[80:81], v[128:129], 0 // 00000000C09C: D3D700BC 0A030150
	v_mfma_i32_16x16x32_i8 v[188:191], a[82:83], v[130:131], v[188:191]// 00000000C0A4: D3D700BC 0EF30552
	v_mfma_i32_16x16x32_i8 v[188:191], a[84:85], v[132:133], v[188:191]// 00000000C0AC: D3D700BC 0EF30954
	v_mfma_i32_16x16x32_i8 v[188:191], a[86:87], v[134:135], v[188:191]// 00000000C0B4: D3D700BC 0EF30D56
	v_mfma_i32_16x16x32_i8 v[188:191], a[88:89], v[136:137], v[188:191]// 00000000C0BC: D3D700BC 0EF31158
	v_mfma_i32_16x16x32_i8 v[188:191], a[90:91], v[138:139], v[188:191]// 00000000C0C4: D3D700BC 0EF3155A
	v_mfma_i32_16x16x32_i8 v[188:191], a[92:93], v[140:141], v[188:191]// 00000000C0CC: D3D700BC 0EF3195C
	v_mfma_i32_16x16x32_i8 v[188:191], a[94:95], v[142:143], v[188:191]// 00000000C0D4: D3D700BC 0EF31D5E
	v_add_u32_e32 v1, s56, v1                                  // 00000000C0DC: 68020238
	s_addk_i32 s70, 0x100                                      // 00000000C0E0: B7460100
	s_cmp_lt_i32 s70, s71                                      // 00000000C0E4: BF044746
	s_cbranch_scc0 label_2233                                  // 00000000C0E8: BF84FA78
	s_waitcnt vmcnt(8) lgkmcnt(0)                              // 00000000C0EC: BF8C0078
	v_mul_u32_u24_dpp v64, v16, v54 row_newbcast:0 row_mask:0xf bank_mask:0xf// 00000000C0F0: 10806CFA FF015010
	v_mul_u32_u24_dpp v65, v16, v54 row_newbcast:4 row_mask:0xf bank_mask:0xf// 00000000C0F8: 10826CFA FF015410
	v_mul_u32_u24_dpp v66, v16, v54 row_newbcast:8 row_mask:0xf bank_mask:0xf// 00000000C100: 10846CFA FF015810
	v_mul_u32_u24_dpp v67, v16, v54 row_newbcast:12 row_mask:0xf bank_mask:0xf// 00000000C108: 10866CFA FF015C10
	v_add_u32_e32 v22, v64, v5                                 // 00000000C110: 682C0B40
	v_add_u32_e32 v23, v65, v5                                 // 00000000C114: 682E0B41
	v_add_u32_e32 v24, v66, v5                                 // 00000000C118: 68300B42
	v_add_u32_e32 v25, v67, v5                                 // 00000000C11C: 68320B43
	v_mul_u32_u24_dpp v64, v16, v63 quad_perm:[0,0,0,0] row_mask:0xf bank_mask:0xf// 00000000C120: 10807EFA FF000010
	v_add_u32_e32 v2, v64, v59                                 // 00000000C128: 68047740
	v_mul_u32_u24_dpp v64, v16, v63 quad_perm:[0,0,0,0] row_mask:0xf bank_mask:0xf// 00000000C12C: 10807EFA FF000010
	v_add_u32_e32 v55, v64, v60                                // 00000000C134: 686E7940
	v_mfma_i32_16x16x32_i8 v[112:115], a[32:33], v[80:81], 0   // 00000000C138: D3D70070 0A02A120
	buffer_load_dwordx4 a[0:3], v22, s[16:19], 0 offen         // 00000000C140: E05C1000 80840016
	v_mfma_i32_16x16x32_i8 v[112:115], a[34:35], v[82:83], v[112:115]// 00000000C148: D3D70070 0DC2A522
	v_mfma_i32_16x16x32_i8 v[112:115], a[36:37], v[84:85], v[112:115]// 00000000C150: D3D70070 0DC2A924
	buffer_load_dword v17, v1, s[24:27], 0 offen               // 00000000C158: E0501000 80061101
	v_mfma_i32_16x16x32_i8 v[112:115], a[38:39], v[86:87], v[112:115]// 00000000C160: D3D70070 0DC2AD26
	v_mfma_i32_16x16x32_i8 v[116:119], a[40:41], v[80:81], 0   // 00000000C168: D3D70074 0A02A128
	buffer_load_dwordx4 a[4:7], v22, s[16:19], 0 offen offset:1024// 00000000C170: E05C1400 80840416
	v_mfma_i32_16x16x32_i8 v[116:119], a[42:43], v[82:83], v[116:119]// 00000000C178: D3D70074 0DD2A52A
	v_mfma_i32_16x16x32_i8 v[116:119], a[44:45], v[84:85], v[116:119]// 00000000C180: D3D70074 0DD2A92C
	v_mfma_i32_16x16x32_i8 v[116:119], a[46:47], v[86:87], v[116:119]// 00000000C188: D3D70074 0DD2AD2E
	v_mfma_i32_16x16x32_i8 v[120:123], a[48:49], v[80:81], 0   // 00000000C190: D3D70078 0A02A130
	buffer_load_dwordx4 a[8:11], v23, s[16:19], 0 offen        // 00000000C198: E05C1000 80840817
	v_mfma_i32_16x16x32_i8 v[120:123], a[50:51], v[82:83], v[120:123]// 00000000C1A0: D3D70078 0DE2A532
	v_mfma_i32_16x16x32_i8 v[120:123], a[52:53], v[84:85], v[120:123]// 00000000C1A8: D3D70078 0DE2A934
	v_mfma_i32_16x16x32_i8 v[120:123], a[54:55], v[86:87], v[120:123]// 00000000C1B0: D3D70078 0DE2AD36
	v_mfma_i32_16x16x32_i8 v[124:127], a[56:57], v[80:81], 0   // 00000000C1B8: D3D7007C 0A02A138
	buffer_load_dwordx4 a[12:15], v23, s[16:19], 0 offen offset:1024// 00000000C1C0: E05C1400 80840C17
	v_mfma_i32_16x16x32_i8 v[124:127], a[58:59], v[82:83], v[124:127]// 00000000C1C8: D3D7007C 0DF2A53A
	v_mfma_i32_16x16x32_i8 v[124:127], a[60:61], v[84:85], v[124:127]// 00000000C1D0: D3D7007C 0DF2A93C
	v_mfma_i32_16x16x32_i8 v[124:127], a[62:63], v[86:87], v[124:127]// 00000000C1D8: D3D7007C 0DF2AD3E
	v_mfma_i32_16x16x32_i8 v[128:131], a[32:33], v[88:89], 0   // 00000000C1E0: D3D70080 0A02B120
	v_mfma_i32_16x16x32_i8 v[128:131], a[34:35], v[90:91], v[128:131]// 00000000C1E8: D3D70080 0E02B522
	v_mfma_i32_16x16x32_i8 v[128:131], a[36:37], v[92:93], v[128:131]// 00000000C1F0: D3D70080 0E02B924
	v_mfma_i32_16x16x32_i8 v[128:131], a[38:39], v[94:95], v[128:131]// 00000000C1F8: D3D70080 0E02BD26
	v_mfma_i32_16x16x32_i8 v[132:135], a[40:41], v[88:89], 0   // 00000000C200: D3D70084 0A02B128
	v_mfma_i32_16x16x32_i8 v[132:135], a[42:43], v[90:91], v[132:135]// 00000000C208: D3D70084 0E12B52A
	v_mfma_i32_16x16x32_i8 v[132:135], a[44:45], v[92:93], v[132:135]// 00000000C210: D3D70084 0E12B92C
	v_mfma_i32_16x16x32_i8 v[132:135], a[46:47], v[94:95], v[132:135]// 00000000C218: D3D70084 0E12BD2E
	v_mfma_i32_16x16x32_i8 v[136:139], a[48:49], v[88:89], 0   // 00000000C220: D3D70088 0A02B130
	v_mfma_i32_16x16x32_i8 v[136:139], a[50:51], v[90:91], v[136:139]// 00000000C228: D3D70088 0E22B532
	v_mfma_i32_16x16x32_i8 v[136:139], a[52:53], v[92:93], v[136:139]// 00000000C230: D3D70088 0E22B934
	v_mfma_i32_16x16x32_i8 v[136:139], a[54:55], v[94:95], v[136:139]// 00000000C238: D3D70088 0E22BD36
	v_mfma_i32_16x16x32_i8 v[140:143], a[56:57], v[88:89], 0   // 00000000C240: D3D7008C 0A02B138
	v_mfma_i32_16x16x32_i8 v[140:143], a[58:59], v[90:91], v[140:143]// 00000000C248: D3D7008C 0E32B53A
	v_mfma_i32_16x16x32_i8 v[140:143], a[60:61], v[92:93], v[140:143]// 00000000C250: D3D7008C 0E32B93C
	v_mfma_i32_16x16x32_i8 v[140:143], a[62:63], v[94:95], v[140:143]// 00000000C258: D3D7008C 0E32BD3E
	buffer_load_dword v42, v2, s[32:35], 0 offen               // 00000000C260: E0501000 80082A02
	v_mov_b32_dpp v64, v43 row_shr:4 row_mask:0xf bank_mask:0xf// 00000000C268: 7E8002FA FF01142B
	v_mov_b32_dpp v65, v43 row_shl:4 row_mask:0xf bank_mask:0xf// 00000000C270: 7E8202FA FF01042B
	v_cndmask_b32_e64 v248, v43, v64, s[44:45]                 // 00000000C278: D10000F8 00B2812B
	v_cndmask_b32_e64 v249, v65, v43, s[44:45]                 // 00000000C280: D10000F9 00B25741
	v_mov_b32_dpp v64, v248 row_shr:8 row_mask:0xf bank_mask:0xf// 00000000C288: 7E8002FA FF0118F8
	v_mov_b32_dpp v65, v248 row_shl:8 row_mask:0xf bank_mask:0xf// 00000000C290: 7E8202FA FF0108F8
	v_mov_b32_dpp v66, v249 row_shr:8 row_mask:0xf bank_mask:0xf// 00000000C298: 7E8402FA FF0118F9
	v_mov_b32_dpp v67, v249 row_shl:8 row_mask:0xf bank_mask:0xf// 00000000C2A0: 7E8602FA FF0108F9
	v_mov_b32_e32 v68, v248                                    // 00000000C2A8: 7E8803F8
	v_mov_b32_e32 v69, v249                                    // 00000000C2AC: 7E8A03F9
	v_cndmask_b32_e64 v248, v68, v64, s[42:43]                 // 00000000C2B0: D10000F8 00AA8144
	v_cndmask_b32_e64 v250, v68, v65, s[78:79]                 // 00000000C2B8: D10000FA 013A8344
	v_cndmask_b32_e64 v249, v69, v66, s[42:43]                 // 00000000C2C0: D10000F9 00AA8545
	v_cndmask_b32_e64 v251, v69, v67, s[78:79]                 // 00000000C2C8: D10000FB 013A8745
	v_mov_b32_dpp v64, v58 row_shr:4 row_mask:0xf bank_mask:0xf// 00000000C2D0: 7E8002FA FF01143A
	v_mov_b32_dpp v65, v58 row_shl:4 row_mask:0xf bank_mask:0xf// 00000000C2D8: 7E8202FA FF01043A
	v_cndmask_b32_e64 v252, v58, v64, s[44:45]                 // 00000000C2E0: D10000FC 00B2813A
	v_cndmask_b32_e64 v253, v65, v58, s[44:45]                 // 00000000C2E8: D10000FD 00B27541
	v_mov_b32_dpp v64, v252 row_shr:8 row_mask:0xf bank_mask:0xf// 00000000C2F0: 7E8002FA FF0118FC
	v_mov_b32_dpp v65, v252 row_shl:8 row_mask:0xf bank_mask:0xf// 00000000C2F8: 7E8202FA FF0108FC
	v_mov_b32_dpp v66, v253 row_shr:8 row_mask:0xf bank_mask:0xf// 00000000C300: 7E8402FA FF0118FD
	v_mov_b32_dpp v67, v253 row_shl:8 row_mask:0xf bank_mask:0xf// 00000000C308: 7E8602FA FF0108FD
	v_mov_b32_e32 v68, v252                                    // 00000000C310: 7E8803FC
	v_mov_b32_e32 v69, v253                                    // 00000000C314: 7E8A03FD
	v_cndmask_b32_e64 v252, v68, v64, s[42:43]                 // 00000000C318: D10000FC 00AA8144
	v_cndmask_b32_e64 v254, v68, v65, s[78:79]                 // 00000000C320: D10000FE 013A8344
	v_cndmask_b32_e64 v253, v69, v66, s[42:43]                 // 00000000C328: D10000FD 00AA8545
	v_cndmask_b32_e64 v255, v69, v67, s[78:79]                 // 00000000C330: D10000FF 013A8745
	buffer_load_dword v57, v55, s[36:39], 0 offen              // 00000000C338: E0501000 80093937
	v_cvt_f32_i32_e32 v112, v112                               // 00000000C340: 7EE00B70
	v_cvt_f32_i32_e32 v113, v113                               // 00000000C344: 7EE20B71
	v_cvt_f32_i32_e32 v114, v114                               // 00000000C348: 7EE40B72
	v_cvt_f32_i32_e32 v115, v115                               // 00000000C34C: 7EE60B73
	v_cvt_f32_i32_e32 v116, v116                               // 00000000C350: 7EE80B74
	v_cvt_f32_i32_e32 v117, v117                               // 00000000C354: 7EEA0B75
	v_cvt_f32_i32_e32 v118, v118                               // 00000000C358: 7EEC0B76
	v_cvt_f32_i32_e32 v119, v119                               // 00000000C35C: 7EEE0B77
	v_cvt_f32_i32_e32 v120, v120                               // 00000000C360: 7EF00B78
	v_cvt_f32_i32_e32 v121, v121                               // 00000000C364: 7EF20B79
	v_cvt_f32_i32_e32 v122, v122                               // 00000000C368: 7EF40B7A
	v_cvt_f32_i32_e32 v123, v123                               // 00000000C36C: 7EF60B7B
	v_cvt_f32_i32_e32 v124, v124                               // 00000000C370: 7EF80B7C
	v_cvt_f32_i32_e32 v125, v125                               // 00000000C374: 7EFA0B7D
	v_cvt_f32_i32_e32 v126, v126                               // 00000000C378: 7EFC0B7E
	v_cvt_f32_i32_e32 v127, v127                               // 00000000C37C: 7EFE0B7F
	v_mul_f32_e32 v112, v18, v112                              // 00000000C380: 0AE0E112
	v_mul_f32_e32 v113, v18, v113                              // 00000000C384: 0AE2E312
	v_mul_f32_e32 v114, v18, v114                              // 00000000C388: 0AE4E512
	v_mul_f32_e32 v115, v18, v115                              // 00000000C38C: 0AE6E712
	v_mul_f32_e32 v116, v18, v116                              // 00000000C390: 0AE8E912
	v_mul_f32_e32 v117, v18, v117                              // 00000000C394: 0AEAEB12
	v_mul_f32_e32 v118, v18, v118                              // 00000000C398: 0AECED12
	v_mul_f32_e32 v119, v18, v119                              // 00000000C39C: 0AEEEF12
	v_mul_f32_e32 v120, v18, v120                              // 00000000C3A0: 0AF0F112
	v_mul_f32_e32 v121, v18, v121                              // 00000000C3A4: 0AF2F312
	v_mul_f32_e32 v122, v18, v122                              // 00000000C3A8: 0AF4F512
	v_mul_f32_e32 v123, v18, v123                              // 00000000C3AC: 0AF6F712
	v_mul_f32_e32 v124, v18, v124                              // 00000000C3B0: 0AF8F912
	v_mul_f32_e32 v125, v18, v125                              // 00000000C3B4: 0AFAFB12
	v_mul_f32_e32 v126, v18, v126                              // 00000000C3B8: 0AFCFD12
	v_mul_f32_e32 v127, v18, v127                              // 00000000C3BC: 0AFEFF12
	buffer_load_dwordx4 a[16:19], v24, s[16:19], 0 offen       // 00000000C3C0: E05C1000 80841018
	v_mul_f32_dpp v112, v248, v112 quad_perm:[0,0,0,0] row_mask:0xf bank_mask:0xf// 00000000C3C8: 0AE0E0FA FF0000F8
	v_mul_f32_dpp v113, v248, v113 quad_perm:[1,1,1,1] row_mask:0xf bank_mask:0xf// 00000000C3D0: 0AE2E2FA FF0055F8
	v_mul_f32_dpp v114, v248, v114 quad_perm:[2,2,2,2] row_mask:0xf bank_mask:0xf// 00000000C3D8: 0AE4E4FA FF00AAF8
	v_mul_f32_dpp v115, v248, v115 quad_perm:[3,3,3,3] row_mask:0xf bank_mask:0xf// 00000000C3E0: 0AE6E6FA FF00FFF8
	v_mul_f32_dpp v116, v249, v116 quad_perm:[0,0,0,0] row_mask:0xf bank_mask:0xf// 00000000C3E8: 0AE8E8FA FF0000F9
	v_mul_f32_dpp v117, v249, v117 quad_perm:[1,1,1,1] row_mask:0xf bank_mask:0xf// 00000000C3F0: 0AEAEAFA FF0055F9
	v_mul_f32_dpp v118, v249, v118 quad_perm:[2,2,2,2] row_mask:0xf bank_mask:0xf// 00000000C3F8: 0AECECFA FF00AAF9
	v_mul_f32_dpp v119, v249, v119 quad_perm:[3,3,3,3] row_mask:0xf bank_mask:0xf// 00000000C400: 0AEEEEFA FF00FFF9
	v_mul_f32_dpp v120, v250, v120 quad_perm:[0,0,0,0] row_mask:0xf bank_mask:0xf// 00000000C408: 0AF0F0FA FF0000FA
	v_mul_f32_dpp v121, v250, v121 quad_perm:[1,1,1,1] row_mask:0xf bank_mask:0xf// 00000000C410: 0AF2F2FA FF0055FA
	v_mul_f32_dpp v122, v250, v122 quad_perm:[2,2,2,2] row_mask:0xf bank_mask:0xf// 00000000C418: 0AF4F4FA FF00AAFA
	v_mul_f32_dpp v123, v250, v123 quad_perm:[3,3,3,3] row_mask:0xf bank_mask:0xf// 00000000C420: 0AF6F6FA FF00FFFA
	v_mul_f32_dpp v124, v251, v124 quad_perm:[0,0,0,0] row_mask:0xf bank_mask:0xf// 00000000C428: 0AF8F8FA FF0000FB
	v_mul_f32_dpp v125, v251, v125 quad_perm:[1,1,1,1] row_mask:0xf bank_mask:0xf// 00000000C430: 0AFAFAFA FF0055FB
	v_mul_f32_dpp v126, v251, v126 quad_perm:[2,2,2,2] row_mask:0xf bank_mask:0xf// 00000000C438: 0AFCFCFA FF00AAFB
	v_mul_f32_dpp v127, v251, v127 quad_perm:[3,3,3,3] row_mask:0xf bank_mask:0xf// 00000000C440: 0AFEFEFA FF00FFFB
	buffer_load_dwordx4 a[20:23], v24, s[16:19], 0 offen offset:1024// 00000000C448: E05C1400 80841418
	s_cmp_le_i32 s90, s89                                      // 00000000C450: BF05595A
	s_cbranch_scc1 label_2907                                  // 00000000C454: BF850071
	v_mov_b32_e32 v66, 0xff800000                              // 00000000C458: 7E8402FF FF800000
	s_mov_b32 s60, s90                                         // 00000000C460: BEBC005A
	s_add_u32 s61, s89, 0xff                                   // 00000000C464: 803DFF59 000000FF
	v_mov_b32_e32 v64, s61                                     // 00000000C46C: 7E80023D
	v_lshrrev_b32_e32 v240, 4, v0                              // 00000000C470: 21E00084
	v_mul_i32_i24_e32 v240, 4, v240                            // 00000000C474: 0DE1E084
	v_add_u32_e32 v240, s60, v240                              // 00000000C478: 69E1E03C
	s_mov_b32 s61, 0                                           // 00000000C47C: BEBD0080
	s_mul_i32 s60, 16, s7                                      // 00000000C480: 923C0790
	v_sub_u32_e64 v240, v240, s61                              // 00000000C484: D13500F0 00007BF0
	v_add_u32_e32 v240, s60, v240                              // 00000000C48C: 69E1E03C
	v_add_u32_e32 v241, 1, v240                                // 00000000C490: 69E3E081
	v_add_u32_e32 v242, 2, v240                                // 00000000C494: 69E5E082
	v_add_u32_e32 v243, 3, v240                                // 00000000C498: 69E7E083
	v_cmp_le_u32_e64 s[40:41], v240, v64                       // 00000000C49C: D0CB0028 000281F0
	v_add_u32_e32 v240, 64, v240                               // 00000000C4A4: 69E1E0C0
	s_nop 0                                                    // 00000000C4A8: BF800000
	v_cndmask_b32_e64 v112, v66, v112, s[40:41]                // 00000000C4AC: D1000070 00A2E142
	v_cmp_le_u32_e64 s[40:41], v241, v64                       // 00000000C4B4: D0CB0028 000281F1
	v_add_u32_e32 v241, 64, v241                               // 00000000C4BC: 69E3E2C0
	s_nop 0                                                    // 00000000C4C0: BF800000
	v_cndmask_b32_e64 v113, v66, v113, s[40:41]                // 00000000C4C4: D1000071 00A2E342
	v_cmp_le_u32_e64 s[40:41], v242, v64                       // 00000000C4CC: D0CB0028 000281F2
	v_add_u32_e32 v242, 64, v242                               // 00000000C4D4: 69E5E4C0
	s_nop 0                                                    // 00000000C4D8: BF800000
	v_cndmask_b32_e64 v114, v66, v114, s[40:41]                // 00000000C4DC: D1000072 00A2E542
	v_cmp_le_u32_e64 s[40:41], v243, v64                       // 00000000C4E4: D0CB0028 000281F3
	v_add_u32_e32 v243, 64, v243                               // 00000000C4EC: 69E7E6C0
	s_nop 0                                                    // 00000000C4F0: BF800000
	v_cndmask_b32_e64 v115, v66, v115, s[40:41]                // 00000000C4F4: D1000073 00A2E742
	v_cmp_le_u32_e64 s[40:41], v240, v64                       // 00000000C4FC: D0CB0028 000281F0
	v_add_u32_e32 v240, 64, v240                               // 00000000C504: 69E1E0C0
	s_nop 0                                                    // 00000000C508: BF800000
	v_cndmask_b32_e64 v116, v66, v116, s[40:41]                // 00000000C50C: D1000074 00A2E942
	v_cmp_le_u32_e64 s[40:41], v241, v64                       // 00000000C514: D0CB0028 000281F1
	v_add_u32_e32 v241, 64, v241                               // 00000000C51C: 69E3E2C0
	s_nop 0                                                    // 00000000C520: BF800000
	v_cndmask_b32_e64 v117, v66, v117, s[40:41]                // 00000000C524: D1000075 00A2EB42
	v_cmp_le_u32_e64 s[40:41], v242, v64                       // 00000000C52C: D0CB0028 000281F2
	v_add_u32_e32 v242, 64, v242                               // 00000000C534: 69E5E4C0
	s_nop 0                                                    // 00000000C538: BF800000
	v_cndmask_b32_e64 v118, v66, v118, s[40:41]                // 00000000C53C: D1000076 00A2ED42
	v_cmp_le_u32_e64 s[40:41], v243, v64                       // 00000000C544: D0CB0028 000281F3
	v_add_u32_e32 v243, 64, v243                               // 00000000C54C: 69E7E6C0
	s_nop 0                                                    // 00000000C550: BF800000
	v_cndmask_b32_e64 v119, v66, v119, s[40:41]                // 00000000C554: D1000077 00A2EF42
	v_cmp_le_u32_e64 s[40:41], v240, v64                       // 00000000C55C: D0CB0028 000281F0
	v_add_u32_e32 v240, 64, v240                               // 00000000C564: 69E1E0C0
	s_nop 0                                                    // 00000000C568: BF800000
	v_cndmask_b32_e64 v120, v66, v120, s[40:41]                // 00000000C56C: D1000078 00A2F142
	v_cmp_le_u32_e64 s[40:41], v241, v64                       // 00000000C574: D0CB0028 000281F1
	v_add_u32_e32 v241, 64, v241                               // 00000000C57C: 69E3E2C0
	s_nop 0                                                    // 00000000C580: BF800000
	v_cndmask_b32_e64 v121, v66, v121, s[40:41]                // 00000000C584: D1000079 00A2F342
	v_cmp_le_u32_e64 s[40:41], v242, v64                       // 00000000C58C: D0CB0028 000281F2
	v_add_u32_e32 v242, 64, v242                               // 00000000C594: 69E5E4C0
	s_nop 0                                                    // 00000000C598: BF800000
	v_cndmask_b32_e64 v122, v66, v122, s[40:41]                // 00000000C59C: D100007A 00A2F542
	v_cmp_le_u32_e64 s[40:41], v243, v64                       // 00000000C5A4: D0CB0028 000281F3
	v_add_u32_e32 v243, 64, v243                               // 00000000C5AC: 69E7E6C0
	s_nop 0                                                    // 00000000C5B0: BF800000
	v_cndmask_b32_e64 v123, v66, v123, s[40:41]                // 00000000C5B4: D100007B 00A2F742
	v_cmp_le_u32_e64 s[40:41], v240, v64                       // 00000000C5BC: D0CB0028 000281F0
	v_add_u32_e32 v240, 64, v240                               // 00000000C5C4: 69E1E0C0
	s_nop 0                                                    // 00000000C5C8: BF800000
	v_cndmask_b32_e64 v124, v66, v124, s[40:41]                // 00000000C5CC: D100007C 00A2F942
	v_cmp_le_u32_e64 s[40:41], v241, v64                       // 00000000C5D4: D0CB0028 000281F1
	v_add_u32_e32 v241, 64, v241                               // 00000000C5DC: 69E3E2C0
	s_nop 0                                                    // 00000000C5E0: BF800000
	v_cndmask_b32_e64 v125, v66, v125, s[40:41]                // 00000000C5E4: D100007D 00A2FB42
	v_cmp_le_u32_e64 s[40:41], v242, v64                       // 00000000C5EC: D0CB0028 000281F2
	v_add_u32_e32 v242, 64, v242                               // 00000000C5F4: 69E5E4C0
	s_nop 0                                                    // 00000000C5F8: BF800000
	v_cndmask_b32_e64 v126, v66, v126, s[40:41]                // 00000000C5FC: D100007E 00A2FD42
	v_cmp_le_u32_e64 s[40:41], v243, v64                       // 00000000C604: D0CB0028 000281F3
	v_add_u32_e32 v243, 64, v243                               // 00000000C60C: 69E7E6C0
	s_nop 0                                                    // 00000000C610: BF800000
	v_cndmask_b32_e64 v127, v66, v127, s[40:41]                // 00000000C614: D100007F 00A2FF42

000000000000c61c <label_2907>:
	v_mov_b32_e32 v48, v112                                    // 00000000C61C: 7E600370
	v_max3_f32 v48, v112, v113, v48                            // 00000000C620: D1D30030 04C2E370
	v_max3_f32 v48, v114, v115, v48                            // 00000000C628: D1D30030 04C2E772
	v_max3_f32 v48, v116, v117, v48                            // 00000000C630: D1D30030 04C2EB74
	v_max3_f32 v48, v118, v119, v48                            // 00000000C638: D1D30030 04C2EF76
	v_max3_f32 v48, v120, v121, v48                            // 00000000C640: D1D30030 04C2F378
	v_max3_f32 v48, v122, v123, v48                            // 00000000C648: D1D30030 04C2F77A
	v_max3_f32 v48, v124, v125, v48                            // 00000000C650: D1D30030 04C2FB7C
	v_max3_f32 v48, v126, v127, v48                            // 00000000C658: D1D30030 04C2FF7E
	ds_write_b32 v8, v48 offset:16896                          // 00000000C660: D81A4200 00003008
	buffer_load_dwordx4 a[24:27], v25, s[16:19], 0 offen       // 00000000C668: E05C1000 80841819
	v_mul_u32_u24_dpp v64, v16, v54 row_newbcast:1 row_mask:0xf bank_mask:0xf// 00000000C670: 10806CFA FF015110
	v_mul_u32_u24_dpp v65, v16, v54 row_newbcast:5 row_mask:0xf bank_mask:0xf// 00000000C678: 10826CFA FF015510
	v_mul_u32_u24_dpp v66, v16, v54 row_newbcast:9 row_mask:0xf bank_mask:0xf// 00000000C680: 10846CFA FF015910
	v_mul_u32_u24_dpp v67, v16, v54 row_newbcast:13 row_mask:0xf bank_mask:0xf// 00000000C688: 10866CFA FF015D10
	v_add_u32_e32 v30, v64, v6                                 // 00000000C690: 683C0D40
	v_add_u32_e32 v31, v65, v6                                 // 00000000C694: 683E0D41
	v_add_u32_e32 v32, v66, v6                                 // 00000000C698: 68400D42
	v_add_u32_e32 v33, v67, v6                                 // 00000000C69C: 68420D43
	v_mul_f32_e32 v208, v49, v208                              // 00000000C6A0: 0BA1A131
	v_mul_f32_e32 v209, v49, v209                              // 00000000C6A4: 0BA3A331
	v_mul_f32_e32 v210, v49, v210                              // 00000000C6A8: 0BA5A531
	v_mul_f32_e32 v211, v49, v211                              // 00000000C6AC: 0BA7A731
	v_mul_f32_e32 v212, v49, v212                              // 00000000C6B0: 0BA9A931
	v_mul_f32_e32 v213, v49, v213                              // 00000000C6B4: 0BABAB31
	v_mul_f32_e32 v214, v49, v214                              // 00000000C6B8: 0BADAD31
	v_mul_f32_e32 v215, v49, v215                              // 00000000C6BC: 0BAFAF31
	s_waitcnt lgkmcnt(0)                                       // 00000000C6C0: BF8CC07F
	s_barrier                                                  // 00000000C6C4: BF8A0000
	ds_read_b32 v64, v7 offset:16896                           // 00000000C6C8: D86C4200 40000007
	ds_read_b32 v65, v7 offset:16960                           // 00000000C6D0: D86C4240 41000007
	ds_read_b32 v66, v7 offset:17024                           // 00000000C6D8: D86C4280 42000007
	ds_read_b32 v67, v7 offset:17088                           // 00000000C6E0: D86C42C0 43000007
	ds_read_b32 v68, v7 offset:17152                           // 00000000C6E8: D86C4300 44000007
	ds_read_b32 v69, v7 offset:17216                           // 00000000C6F0: D86C4340 45000007
	ds_read_b32 v70, v7 offset:17280                           // 00000000C6F8: D86C4380 46000007
	ds_read_b32 v71, v7 offset:17344                           // 00000000C700: D86C43C0 47000007
	ds_read_b32 v72, v7 offset:17408                           // 00000000C708: D86C4400 48000007
	ds_read_b32 v73, v7 offset:17472                           // 00000000C710: D86C4440 49000007
	ds_read_b32 v74, v7 offset:17536                           // 00000000C718: D86C4480 4A000007
	ds_read_b32 v75, v7 offset:17600                           // 00000000C720: D86C44C0 4B000007
	ds_read_b32 v76, v7 offset:17664                           // 00000000C728: D86C4500 4C000007
	ds_read_b32 v77, v7 offset:17728                           // 00000000C730: D86C4540 4D000007
	ds_read_b32 v78, v7 offset:17792                           // 00000000C738: D86C4580 4E000007
	ds_read_b32 v79, v7 offset:17856                           // 00000000C740: D86C45C0 4F000007
	buffer_load_dwordx4 a[28:31], v25, s[16:19], 0 offen offset:1024// 00000000C748: E05C1400 80841C19
	v_cvt_f32_i32_e32 v176, v176                               // 00000000C750: 7F600BB0
	v_cvt_f32_i32_e32 v177, v177                               // 00000000C754: 7F620BB1
	v_cvt_f32_i32_e32 v178, v178                               // 00000000C758: 7F640BB2
	v_cvt_f32_i32_e32 v179, v179                               // 00000000C75C: 7F660BB3
	v_cvt_f32_i32_e32 v180, v180                               // 00000000C760: 7F680BB4
	v_cvt_f32_i32_e32 v181, v181                               // 00000000C764: 7F6A0BB5
	v_cvt_f32_i32_e32 v182, v182                               // 00000000C768: 7F6C0BB6
	v_cvt_f32_i32_e32 v183, v183                               // 00000000C76C: 7F6E0BB7
	v_mul_f32_e32 v176, v44, v176                              // 00000000C770: 0B61612C
	v_mul_f32_e32 v177, v44, v177                              // 00000000C774: 0B63632C
	v_mul_f32_e32 v178, v44, v178                              // 00000000C778: 0B65652C
	v_mul_f32_e32 v179, v44, v179                              // 00000000C77C: 0B67672C
	v_mul_f32_e32 v180, v44, v180                              // 00000000C780: 0B69692C
	v_mul_f32_e32 v181, v44, v181                              // 00000000C784: 0B6B6B2C
	v_mul_f32_e32 v182, v44, v182                              // 00000000C788: 0B6D6D2C
	v_mul_f32_e32 v183, v44, v183                              // 00000000C78C: 0B6F6F2C
	s_waitcnt lgkmcnt(0)                                       // 00000000C790: BF8CC07F
	v_max3_f32 v48, v64, v65, v48                              // 00000000C794: D1D30030 04C28340
	v_max3_f32 v48, v66, v67, v48                              // 00000000C79C: D1D30030 04C28742
	v_max3_f32 v48, v68, v69, v48                              // 00000000C7A4: D1D30030 04C28B44
	v_max3_f32 v48, v70, v71, v48                              // 00000000C7AC: D1D30030 04C28F46
	v_max3_f32 v48, v72, v73, v48                              // 00000000C7B4: D1D30030 04C29348
	v_max3_f32 v48, v74, v75, v48                              // 00000000C7BC: D1D30030 04C2974A
	v_max3_f32 v48, v76, v77, v48                              // 00000000C7C4: D1D30030 04C29B4C
	v_max3_f32 v48, v78, v79, v48                              // 00000000C7CC: D1D30030 04C29F4E
	buffer_load_dwordx4 a[64:67], v30, s[20:23], 0 offen       // 00000000C7D4: E05C1000 8085401E
	v_mov_b32_e32 v64, 0xff800000                              // 00000000C7DC: 7E8002FF FF800000
	v_cmp_eq_u32_e64 s[40:41], v64, v11                        // 00000000C7E4: D0CA0028 00021740
	s_nop 1                                                    // 00000000C7EC: BF800001
	v_max_f32_e32 v15, v48, v11                                // 00000000C7F0: 161E1730
	v_mul_f32_e32 v53, s64, v15                                // 00000000C7F4: 0A6A1E40
	v_fma_f32 v112, v112, s64, -v53                            // 00000000C7F8: D1CB0070 84D48170
	v_fma_f32 v113, v113, s64, -v53                            // 00000000C800: D1CB0071 84D48171
	v_fma_f32 v114, v114, s64, -v53                            // 00000000C808: D1CB0072 84D48172
	v_fma_f32 v115, v115, s64, -v53                            // 00000000C810: D1CB0073 84D48173
	v_fma_f32 v116, v116, s64, -v53                            // 00000000C818: D1CB0074 84D48174
	v_fma_f32 v117, v117, s64, -v53                            // 00000000C820: D1CB0075 84D48175
	v_fma_f32 v118, v118, s64, -v53                            // 00000000C828: D1CB0076 84D48176
	v_fma_f32 v119, v119, s64, -v53                            // 00000000C830: D1CB0077 84D48177
	v_fma_f32 v120, v120, s64, -v53                            // 00000000C838: D1CB0078 84D48178
	v_fma_f32 v121, v121, s64, -v53                            // 00000000C840: D1CB0079 84D48179
	v_fma_f32 v122, v122, s64, -v53                            // 00000000C848: D1CB007A 84D4817A
	v_fma_f32 v123, v123, s64, -v53                            // 00000000C850: D1CB007B 84D4817B
	v_fma_f32 v124, v124, s64, -v53                            // 00000000C858: D1CB007C 84D4817C
	v_fma_f32 v125, v125, s64, -v53                            // 00000000C860: D1CB007D 84D4817D
	v_fma_f32 v126, v126, s64, -v53                            // 00000000C868: D1CB007E 84D4817E
	v_fma_f32 v127, v127, s64, -v53                            // 00000000C870: D1CB007F 84D4817F
	buffer_load_dwordx4 a[68:71], v31, s[20:23], 0 offen       // 00000000C878: E05C1000 8085441F
	v_exp_f32_e32 v112, v112                                   // 00000000C880: 7EE04170
	v_exp_f32_e32 v113, v113                                   // 00000000C884: 7EE24171
	v_exp_f32_e32 v114, v114                                   // 00000000C888: 7EE44172
	v_exp_f32_e32 v115, v115                                   // 00000000C88C: 7EE64173
	v_exp_f32_e32 v116, v116                                   // 00000000C890: 7EE84174
	v_exp_f32_e32 v117, v117                                   // 00000000C894: 7EEA4175
	v_exp_f32_e32 v118, v118                                   // 00000000C898: 7EEC4176
	v_exp_f32_e32 v119, v119                                   // 00000000C89C: 7EEE4177
	v_exp_f32_e32 v120, v120                                   // 00000000C8A0: 7EF04178
	v_exp_f32_e32 v121, v121                                   // 00000000C8A4: 7EF24179
	v_exp_f32_e32 v122, v122                                   // 00000000C8A8: 7EF4417A
	v_exp_f32_e32 v123, v123                                   // 00000000C8AC: 7EF6417B
	v_exp_f32_e32 v124, v124                                   // 00000000C8B0: 7EF8417C
	v_exp_f32_e32 v125, v125                                   // 00000000C8B4: 7EFA417D
	v_exp_f32_e32 v126, v126                                   // 00000000C8B8: 7EFC417E
	v_exp_f32_e32 v127, v127                                   // 00000000C8BC: 7EFE417F
	buffer_load_dwordx4 a[72:75], v32, s[20:23], 0 offen       // 00000000C8C0: E05C1000 80854820
	v_mul_f32_dpp v240, v252, v112 quad_perm:[0,0,0,0] row_mask:0xf bank_mask:0xf// 00000000C8C8: 0BE0E0FA FF0000FC
	v_mul_f32_dpp v241, v252, v113 quad_perm:[1,1,1,1] row_mask:0xf bank_mask:0xf// 00000000C8D0: 0BE2E2FA FF0055FC
	v_mul_f32_dpp v242, v252, v114 quad_perm:[2,2,2,2] row_mask:0xf bank_mask:0xf// 00000000C8D8: 0BE4E4FA FF00AAFC
	v_mul_f32_dpp v243, v252, v115 quad_perm:[3,3,3,3] row_mask:0xf bank_mask:0xf// 00000000C8E0: 0BE6E6FA FF00FFFC
	v_mul_f32_dpp v244, v253, v116 quad_perm:[0,0,0,0] row_mask:0xf bank_mask:0xf// 00000000C8E8: 0BE8E8FA FF0000FD
	v_mul_f32_dpp v245, v253, v117 quad_perm:[1,1,1,1] row_mask:0xf bank_mask:0xf// 00000000C8F0: 0BEAEAFA FF0055FD
	v_mul_f32_dpp v246, v253, v118 quad_perm:[2,2,2,2] row_mask:0xf bank_mask:0xf// 00000000C8F8: 0BECECFA FF00AAFD
	v_mul_f32_dpp v247, v253, v119 quad_perm:[3,3,3,3] row_mask:0xf bank_mask:0xf// 00000000C900: 0BEEEEFA FF00FFFD
	v_mul_f32_dpp v248, v254, v120 quad_perm:[0,0,0,0] row_mask:0xf bank_mask:0xf// 00000000C908: 0BF0F0FA FF0000FE
	v_mul_f32_dpp v249, v254, v121 quad_perm:[1,1,1,1] row_mask:0xf bank_mask:0xf// 00000000C910: 0BF2F2FA FF0055FE
	v_mul_f32_dpp v250, v254, v122 quad_perm:[2,2,2,2] row_mask:0xf bank_mask:0xf// 00000000C918: 0BF4F4FA FF00AAFE
	v_mul_f32_dpp v251, v254, v123 quad_perm:[3,3,3,3] row_mask:0xf bank_mask:0xf// 00000000C920: 0BF6F6FA FF00FFFE
	v_mul_f32_dpp v252, v255, v124 quad_perm:[0,0,0,0] row_mask:0xf bank_mask:0xf// 00000000C928: 0BF8F8FA FF0000FF
	v_mul_f32_dpp v253, v255, v125 quad_perm:[1,1,1,1] row_mask:0xf bank_mask:0xf// 00000000C930: 0BFAFAFA FF0055FF
	v_mul_f32_dpp v254, v255, v126 quad_perm:[2,2,2,2] row_mask:0xf bank_mask:0xf// 00000000C938: 0BFCFCFA FF00AAFF
	v_mul_f32_dpp v255, v255, v127 quad_perm:[3,3,3,3] row_mask:0xf bank_mask:0xf// 00000000C940: 0BFEFEFA FF00FFFF
	v_mov_b32_e32 v48, 0x358637bd                              // 00000000C948: 7E6002FF 358637BD
	v_max3_f32 v48, |v240|, |v241|, v48                        // 00000000C950: D1D30330 04C3E3F0
	v_max3_f32 v48, |v242|, |v243|, v48                        // 00000000C958: D1D30330 04C3E7F2
	v_max3_f32 v48, |v244|, |v245|, v48                        // 00000000C960: D1D30330 04C3EBF4
	v_max3_f32 v48, |v246|, |v247|, v48                        // 00000000C968: D1D30330 04C3EFF6
	v_max3_f32 v48, |v248|, |v249|, v48                        // 00000000C970: D1D30330 04C3F3F8
	v_max3_f32 v48, |v250|, |v251|, v48                        // 00000000C978: D1D30330 04C3F7FA
	v_max3_f32 v48, |v252|, |v253|, v48                        // 00000000C980: D1D30330 04C3FBFC
	v_max3_f32 v48, |v254|, |v255|, v48                        // 00000000C988: D1D30330 04C3FFFE
	buffer_load_dwordx4 a[76:79], v33, s[20:23], 0 offen       // 00000000C990: E05C1000 80854C21
	ds_write_b32 v8, v48 offset:20992                          // 00000000C998: D81A5200 00003008
	v_sub_f32_e32 v49, v11, v15                                // 00000000C9A0: 04621F0B
	v_cndmask_b32_e64 v49, v49, 0, s[40:41]                    // 00000000C9A4: D1000031 00A10131
	v_mov_b32_e32 v11, v15                                     // 00000000C9AC: 7E16030F
	v_mul_f32_e32 v49, s64, v49                                // 00000000C9B0: 0A626240
	v_exp_f32_e32 v49, v49                                     // 00000000C9B4: 7E624131
	s_waitcnt lgkmcnt(0)                                       // 00000000C9B8: BF8CC07F
	s_barrier                                                  // 00000000C9BC: BF8A0000
	ds_read_b32 v64, v7 offset:20992                           // 00000000C9C0: D86C5200 40000007
	ds_read_b32 v65, v7 offset:21056                           // 00000000C9C8: D86C5240 41000007
	ds_read_b32 v66, v7 offset:21120                           // 00000000C9D0: D86C5280 42000007
	ds_read_b32 v67, v7 offset:21184                           // 00000000C9D8: D86C52C0 43000007
	ds_read_b32 v68, v7 offset:21248                           // 00000000C9E0: D86C5300 44000007
	ds_read_b32 v69, v7 offset:21312                           // 00000000C9E8: D86C5340 45000007
	ds_read_b32 v70, v7 offset:21376                           // 00000000C9F0: D86C5380 46000007
	ds_read_b32 v71, v7 offset:21440                           // 00000000C9F8: D86C53C0 47000007
	ds_read_b32 v72, v7 offset:21504                           // 00000000CA00: D86C5400 48000007
	ds_read_b32 v73, v7 offset:21568                           // 00000000CA08: D86C5440 49000007
	ds_read_b32 v74, v7 offset:21632                           // 00000000CA10: D86C5480 4A000007
	ds_read_b32 v75, v7 offset:21696                           // 00000000CA18: D86C54C0 4B000007
	ds_read_b32 v76, v7 offset:21760                           // 00000000CA20: D86C5500 4C000007
	ds_read_b32 v77, v7 offset:21824                           // 00000000CA28: D86C5540 4D000007
	ds_read_b32 v78, v7 offset:21888                           // 00000000CA30: D86C5580 4E000007
	ds_read_b32 v79, v7 offset:21952                           // 00000000CA38: D86C55C0 4F000007
	v_mul_f32_e32 v38, v49, v38                                // 00000000CA40: 0A4C4D31
	v_mov_b32_e32 v15, v112                                    // 00000000CA44: 7E1E0370
	v_add_f32_e32 v15, v113, v15                               // 00000000CA48: 021E1F71
	v_add_f32_e32 v15, v114, v15                               // 00000000CA4C: 021E1F72
	v_add_f32_e32 v15, v115, v15                               // 00000000CA50: 021E1F73
	v_add_f32_e32 v15, v116, v15                               // 00000000CA54: 021E1F74
	v_add_f32_e32 v15, v117, v15                               // 00000000CA58: 021E1F75
	v_add_f32_e32 v15, v118, v15                               // 00000000CA5C: 021E1F76
	v_add_f32_e32 v15, v119, v15                               // 00000000CA60: 021E1F77
	v_add_f32_e32 v15, v120, v15                               // 00000000CA64: 021E1F78
	v_add_f32_e32 v15, v121, v15                               // 00000000CA68: 021E1F79
	v_add_f32_e32 v15, v122, v15                               // 00000000CA6C: 021E1F7A
	v_add_f32_e32 v15, v123, v15                               // 00000000CA70: 021E1F7B
	v_add_f32_e32 v15, v124, v15                               // 00000000CA74: 021E1F7C
	v_add_f32_e32 v15, v125, v15                               // 00000000CA78: 021E1F7D
	v_add_f32_e32 v15, v126, v15                               // 00000000CA7C: 021E1F7E
	v_add_f32_e32 v15, v127, v15                               // 00000000CA80: 021E1F7F
	v_add_f32_e32 v38, v15, v38                                // 00000000CA84: 024C4D0F
	s_waitcnt lgkmcnt(0)                                       // 00000000CA88: BF8CC07F
	v_max3_f32 v48, |v64|, |v65|, v48                          // 00000000CA8C: D1D30330 04C28340
	v_max3_f32 v48, |v66|, |v67|, v48                          // 00000000CA94: D1D30330 04C28742
	v_max3_f32 v48, |v68|, |v69|, v48                          // 00000000CA9C: D1D30330 04C28B44
	v_max3_f32 v48, |v70|, |v71|, v48                          // 00000000CAA4: D1D30330 04C28F46
	v_max3_f32 v48, |v72|, |v73|, v48                          // 00000000CAAC: D1D30330 04C29348
	v_max3_f32 v48, |v74|, |v75|, v48                          // 00000000CAB4: D1D30330 04C2974A
	v_max3_f32 v48, |v76|, |v77|, v48                          // 00000000CABC: D1D30330 04C29B4C
	v_max3_f32 v48, |v78|, |v79|, v48                          // 00000000CAC4: D1D30330 04C29F4E
	s_nop 2                                                    // 00000000CACC: BF800002
	v_rcp_f32_e32 v48, v48                                     // 00000000CAD0: 7E604530
	s_nop 1                                                    // 00000000CAD4: BF800001
	v_mul_f32_e32 v48, 0x42fe0000, v48                         // 00000000CAD8: 0A6060FF 42FE0000
	v_mul_f32_e32 v112, v48, v240                              // 00000000CAE0: 0AE1E130
	v_mul_f32_e32 v113, v48, v241                              // 00000000CAE4: 0AE3E330
	v_mul_f32_e32 v114, v48, v242                              // 00000000CAE8: 0AE5E530
	v_mul_f32_e32 v115, v48, v243                              // 00000000CAEC: 0AE7E730
	v_mul_f32_e32 v116, v48, v244                              // 00000000CAF0: 0AE9E930
	v_mul_f32_e32 v117, v48, v245                              // 00000000CAF4: 0AEBEB30
	v_mul_f32_e32 v118, v48, v246                              // 00000000CAF8: 0AEDED30
	v_mul_f32_e32 v119, v48, v247                              // 00000000CAFC: 0AEFEF30
	v_mul_f32_e32 v120, v48, v248                              // 00000000CB00: 0AF1F130
	v_mul_f32_e32 v121, v48, v249                              // 00000000CB04: 0AF3F330
	v_mul_f32_e32 v122, v48, v250                              // 00000000CB08: 0AF5F530
	v_mul_f32_e32 v123, v48, v251                              // 00000000CB0C: 0AF7F730
	v_mul_f32_e32 v124, v48, v252                              // 00000000CB10: 0AF9F930
	v_mul_f32_e32 v125, v48, v253                              // 00000000CB14: 0AFBFB30
	v_mul_f32_e32 v126, v48, v254                              // 00000000CB18: 0AFDFD30
	v_mul_f32_e32 v127, v48, v255                              // 00000000CB1C: 0AFFFF30
	v_cvt_i32_f32_e32 v112, v112                               // 00000000CB20: 7EE01170
	v_cvt_i32_f32_e32 v113, v113                               // 00000000CB24: 7EE21171
	v_cvt_i32_f32_e32 v114, v114                               // 00000000CB28: 7EE41172
	v_cvt_i32_f32_e32 v115, v115                               // 00000000CB2C: 7EE61173
	v_cvt_i32_f32_e32 v116, v116                               // 00000000CB30: 7EE81174
	v_cvt_i32_f32_e32 v117, v117                               // 00000000CB34: 7EEA1175
	v_cvt_i32_f32_e32 v118, v118                               // 00000000CB38: 7EEC1176
	v_cvt_i32_f32_e32 v119, v119                               // 00000000CB3C: 7EEE1177
	v_cvt_i32_f32_e32 v120, v120                               // 00000000CB40: 7EF01178
	v_cvt_i32_f32_e32 v121, v121                               // 00000000CB44: 7EF21179
	v_cvt_i32_f32_e32 v122, v122                               // 00000000CB48: 7EF4117A
	v_cvt_i32_f32_e32 v123, v123                               // 00000000CB4C: 7EF6117B
	v_cvt_i32_f32_e32 v124, v124                               // 00000000CB50: 7EF8117C
	v_cvt_i32_f32_e32 v125, v125                               // 00000000CB54: 7EFA117D
	v_cvt_i32_f32_e32 v126, v126                               // 00000000CB58: 7EFC117E
	v_cvt_i32_f32_e32 v127, v127                               // 00000000CB5C: 7EFE117F
	v_perm_b32 v112, v113, v112, s53                           // 00000000CB60: D1ED0070 00D6E171
	v_perm_b32 v112, v114, v112, s54                           // 00000000CB68: D1ED0070 00DAE172
	v_perm_b32 v112, v115, v112, s55                           // 00000000CB70: D1ED0070 00DEE173
	v_perm_b32 v113, v117, v116, s53                           // 00000000CB78: D1ED0071 00D6E975
	v_perm_b32 v113, v118, v113, s54                           // 00000000CB80: D1ED0071 00DAE376
	v_perm_b32 v113, v119, v113, s55                           // 00000000CB88: D1ED0071 00DEE377
	v_perm_b32 v114, v121, v120, s53                           // 00000000CB90: D1ED0072 00D6F179
	v_perm_b32 v114, v122, v114, s54                           // 00000000CB98: D1ED0072 00DAE57A
	v_perm_b32 v114, v123, v114, s55                           // 00000000CBA0: D1ED0072 00DEE57B
	v_perm_b32 v115, v125, v124, s53                           // 00000000CBA8: D1ED0073 00D6F97D
	v_perm_b32 v115, v126, v115, s54                           // 00000000CBB0: D1ED0073 00DAE77E
	v_perm_b32 v115, v127, v115, s55                           // 00000000CBB8: D1ED0073 00DEE77F
	ds_write_b32 v10, v112 offset:25088                        // 00000000CBC0: D81A6200 0000700A
	ds_write_b32 v10, v113 offset:26112                        // 00000000CBC8: D81A6600 0000710A
	ds_write_b32 v10, v114 offset:27136                        // 00000000CBD0: D81A6A00 0000720A
	ds_write_b32 v10, v115 offset:28160                        // 00000000CBD8: D81A6E00 0000730A
	v_add_f32_e32 v208, v208, v176                             // 00000000CBE0: 03A161D0
	v_add_f32_e32 v209, v209, v177                             // 00000000CBE4: 03A363D1
	v_add_f32_e32 v210, v210, v178                             // 00000000CBE8: 03A565D2
	v_add_f32_e32 v211, v211, v179                             // 00000000CBEC: 03A767D3
	v_add_f32_e32 v212, v212, v180                             // 00000000CBF0: 03A969D4
	v_add_f32_e32 v213, v213, v181                             // 00000000CBF4: 03AB6BD5
	v_add_f32_e32 v214, v214, v182                             // 00000000CBF8: 03AD6DD6
	v_add_f32_e32 v215, v215, v183                             // 00000000CBFC: 03AF6FD7
	v_rcp_f32_e32 v44, v48                                     // 00000000CC00: 7E584530
	s_waitcnt lgkmcnt(0)                                       // 00000000CC04: BF8CC07F
	s_barrier                                                  // 00000000CC08: BF8A0000
	ds_read_b64 v[112:113], v9 offset:25088                    // 00000000CC0C: D8EC6200 70000009
	ds_read_b64 v[114:115], v9 offset:25216                    // 00000000CC14: D8EC6280 72000009
	ds_read_b64 v[116:117], v9 offset:26112                    // 00000000CC1C: D8EC6600 74000009
	ds_read_b64 v[118:119], v9 offset:26240                    // 00000000CC24: D8EC6680 76000009
	ds_read_b64 v[120:121], v9 offset:27136                    // 00000000CC2C: D8EC6A00 78000009
	ds_read_b64 v[122:123], v9 offset:27264                    // 00000000CC34: D8EC6A80 7A000009
	ds_read_b64 v[124:125], v9 offset:28160                    // 00000000CC3C: D8EC6E00 7C000009
	ds_read_b64 v[126:127], v9 offset:28288                    // 00000000CC44: D8EC6E80 7E000009
	v_mov_b32_dpp v64, v43 row_shr:4 row_mask:0xf bank_mask:0xf// 00000000CC4C: 7E8002FA FF01142B
	v_mov_b32_dpp v65, v43 row_shl:4 row_mask:0xf bank_mask:0xf// 00000000CC54: 7E8202FA FF01042B
	v_cndmask_b32_e64 v248, v43, v64, s[44:45]                 // 00000000CC5C: D10000F8 00B2812B
	v_cndmask_b32_e64 v249, v65, v43, s[44:45]                 // 00000000CC64: D10000F9 00B25741
	v_mov_b32_dpp v64, v248 row_shr:8 row_mask:0xf bank_mask:0xf// 00000000CC6C: 7E8002FA FF0118F8
	v_mov_b32_dpp v65, v248 row_shl:8 row_mask:0xf bank_mask:0xf// 00000000CC74: 7E8202FA FF0108F8
	v_mov_b32_dpp v66, v249 row_shr:8 row_mask:0xf bank_mask:0xf// 00000000CC7C: 7E8402FA FF0118F9
	v_mov_b32_dpp v67, v249 row_shl:8 row_mask:0xf bank_mask:0xf// 00000000CC84: 7E8602FA FF0108F9
	v_mov_b32_e32 v68, v248                                    // 00000000CC8C: 7E8803F8
	v_mov_b32_e32 v69, v249                                    // 00000000CC90: 7E8A03F9
	v_cndmask_b32_e64 v248, v68, v64, s[42:43]                 // 00000000CC94: D10000F8 00AA8144
	v_cndmask_b32_e64 v250, v68, v65, s[78:79]                 // 00000000CC9C: D10000FA 013A8344
	v_cndmask_b32_e64 v249, v69, v66, s[42:43]                 // 00000000CCA4: D10000F9 00AA8545
	v_cndmask_b32_e64 v251, v69, v67, s[78:79]                 // 00000000CCAC: D10000FB 013A8745
	v_mov_b32_dpp v64, v58 row_shr:4 row_mask:0xf bank_mask:0xf// 00000000CCB4: 7E8002FA FF01143A
	v_mov_b32_dpp v65, v58 row_shl:4 row_mask:0xf bank_mask:0xf// 00000000CCBC: 7E8202FA FF01043A
	v_cndmask_b32_e64 v252, v58, v64, s[44:45]                 // 00000000CCC4: D10000FC 00B2813A
	v_cndmask_b32_e64 v253, v65, v58, s[44:45]                 // 00000000CCCC: D10000FD 00B27541
	v_mov_b32_dpp v64, v252 row_shr:8 row_mask:0xf bank_mask:0xf// 00000000CCD4: 7E8002FA FF0118FC
	v_mov_b32_dpp v65, v252 row_shl:8 row_mask:0xf bank_mask:0xf// 00000000CCDC: 7E8202FA FF0108FC
	v_mov_b32_dpp v66, v253 row_shr:8 row_mask:0xf bank_mask:0xf// 00000000CCE4: 7E8402FA FF0118FD
	v_mov_b32_dpp v67, v253 row_shl:8 row_mask:0xf bank_mask:0xf// 00000000CCEC: 7E8602FA FF0108FD
	v_mov_b32_e32 v68, v252                                    // 00000000CCF4: 7E8803FC
	v_mov_b32_e32 v69, v253                                    // 00000000CCF8: 7E8A03FD
	v_cndmask_b32_e64 v252, v68, v64, s[42:43]                 // 00000000CCFC: D10000FC 00AA8144
	v_cndmask_b32_e64 v254, v68, v65, s[78:79]                 // 00000000CD04: D10000FE 013A8344
	v_cndmask_b32_e64 v253, v69, v66, s[42:43]                 // 00000000CD0C: D10000FD 00AA8545
	v_cndmask_b32_e64 v255, v69, v67, s[78:79]                 // 00000000CD14: D10000FF 013A8745
	v_cvt_f32_i32_e32 v128, v128                               // 00000000CD1C: 7F000B80
	v_cvt_f32_i32_e32 v129, v129                               // 00000000CD20: 7F020B81
	v_cvt_f32_i32_e32 v130, v130                               // 00000000CD24: 7F040B82
	v_cvt_f32_i32_e32 v131, v131                               // 00000000CD28: 7F060B83
	v_cvt_f32_i32_e32 v132, v132                               // 00000000CD2C: 7F080B84
	v_cvt_f32_i32_e32 v133, v133                               // 00000000CD30: 7F0A0B85
	v_cvt_f32_i32_e32 v134, v134                               // 00000000CD34: 7F0C0B86
	v_cvt_f32_i32_e32 v135, v135                               // 00000000CD38: 7F0E0B87
	v_cvt_f32_i32_e32 v136, v136                               // 00000000CD3C: 7F100B88
	v_cvt_f32_i32_e32 v137, v137                               // 00000000CD40: 7F120B89
	v_cvt_f32_i32_e32 v138, v138                               // 00000000CD44: 7F140B8A
	v_cvt_f32_i32_e32 v139, v139                               // 00000000CD48: 7F160B8B
	v_cvt_f32_i32_e32 v140, v140                               // 00000000CD4C: 7F180B8C
	v_cvt_f32_i32_e32 v141, v141                               // 00000000CD50: 7F1A0B8D
	v_cvt_f32_i32_e32 v142, v142                               // 00000000CD54: 7F1C0B8E
	v_cvt_f32_i32_e32 v143, v143                               // 00000000CD58: 7F1E0B8F
	v_mul_f32_e32 v128, v19, v128                              // 00000000CD5C: 0B010113
	v_mul_f32_e32 v129, v19, v129                              // 00000000CD60: 0B030313
	v_mul_f32_e32 v130, v19, v130                              // 00000000CD64: 0B050513
	v_mul_f32_e32 v131, v19, v131                              // 00000000CD68: 0B070713
	v_mul_f32_e32 v132, v19, v132                              // 00000000CD6C: 0B090913
	v_mul_f32_e32 v133, v19, v133                              // 00000000CD70: 0B0B0B13
	v_mul_f32_e32 v134, v19, v134                              // 00000000CD74: 0B0D0D13
	v_mul_f32_e32 v135, v19, v135                              // 00000000CD78: 0B0F0F13
	v_mul_f32_e32 v136, v19, v136                              // 00000000CD7C: 0B111113
	v_mul_f32_e32 v137, v19, v137                              // 00000000CD80: 0B131313
	v_mul_f32_e32 v138, v19, v138                              // 00000000CD84: 0B151513
	v_mul_f32_e32 v139, v19, v139                              // 00000000CD88: 0B171713
	v_mul_f32_e32 v140, v19, v140                              // 00000000CD8C: 0B191913
	v_mul_f32_e32 v141, v19, v141                              // 00000000CD90: 0B1B1B13
	v_mul_f32_e32 v142, v19, v142                              // 00000000CD94: 0B1D1D13
	v_mul_f32_e32 v143, v19, v143                              // 00000000CD98: 0B1F1F13
	v_mul_f32_dpp v128, v248, v128 quad_perm:[0,0,0,0] row_mask:0xf bank_mask:0xf// 00000000CD9C: 0B0100FA FF0000F8
	v_mul_f32_dpp v129, v248, v129 quad_perm:[1,1,1,1] row_mask:0xf bank_mask:0xf// 00000000CDA4: 0B0302FA FF0055F8
	v_mul_f32_dpp v130, v248, v130 quad_perm:[2,2,2,2] row_mask:0xf bank_mask:0xf// 00000000CDAC: 0B0504FA FF00AAF8
	v_mul_f32_dpp v131, v248, v131 quad_perm:[3,3,3,3] row_mask:0xf bank_mask:0xf// 00000000CDB4: 0B0706FA FF00FFF8
	v_mul_f32_dpp v132, v249, v132 quad_perm:[0,0,0,0] row_mask:0xf bank_mask:0xf// 00000000CDBC: 0B0908FA FF0000F9
	v_mul_f32_dpp v133, v249, v133 quad_perm:[1,1,1,1] row_mask:0xf bank_mask:0xf// 00000000CDC4: 0B0B0AFA FF0055F9
	v_mul_f32_dpp v134, v249, v134 quad_perm:[2,2,2,2] row_mask:0xf bank_mask:0xf// 00000000CDCC: 0B0D0CFA FF00AAF9
	v_mul_f32_dpp v135, v249, v135 quad_perm:[3,3,3,3] row_mask:0xf bank_mask:0xf// 00000000CDD4: 0B0F0EFA FF00FFF9
	v_mul_f32_dpp v136, v250, v136 quad_perm:[0,0,0,0] row_mask:0xf bank_mask:0xf// 00000000CDDC: 0B1110FA FF0000FA
	v_mul_f32_dpp v137, v250, v137 quad_perm:[1,1,1,1] row_mask:0xf bank_mask:0xf// 00000000CDE4: 0B1312FA FF0055FA
	v_mul_f32_dpp v138, v250, v138 quad_perm:[2,2,2,2] row_mask:0xf bank_mask:0xf// 00000000CDEC: 0B1514FA FF00AAFA
	v_mul_f32_dpp v139, v250, v139 quad_perm:[3,3,3,3] row_mask:0xf bank_mask:0xf// 00000000CDF4: 0B1716FA FF00FFFA
	v_mul_f32_dpp v140, v251, v140 quad_perm:[0,0,0,0] row_mask:0xf bank_mask:0xf// 00000000CDFC: 0B1918FA FF0000FB
	v_mul_f32_dpp v141, v251, v141 quad_perm:[1,1,1,1] row_mask:0xf bank_mask:0xf// 00000000CE04: 0B1B1AFA FF0055FB
	v_mul_f32_dpp v142, v251, v142 quad_perm:[2,2,2,2] row_mask:0xf bank_mask:0xf// 00000000CE0C: 0B1D1CFA FF00AAFB
	v_mul_f32_dpp v143, v251, v143 quad_perm:[3,3,3,3] row_mask:0xf bank_mask:0xf// 00000000CE14: 0B1F1EFA FF00FFFB
	s_cmp_le_i32 s90, s89                                      // 00000000CE1C: BF05595A
	s_cbranch_scc1 label_2B7A                                  // 00000000CE20: BF850071
	v_mov_b32_e32 v66, 0xff800000                              // 00000000CE24: 7E8402FF FF800000
	s_mov_b32 s60, s90                                         // 00000000CE2C: BEBC005A
	s_add_u32 s61, s89, 0xff                                   // 00000000CE30: 803DFF59 000000FF
	v_mov_b32_e32 v64, s61                                     // 00000000CE38: 7E80023D
	v_lshrrev_b32_e32 v240, 4, v0                              // 00000000CE3C: 21E00084
	v_mul_i32_i24_e32 v240, 4, v240                            // 00000000CE40: 0DE1E084
	v_add_u32_e32 v240, s60, v240                              // 00000000CE44: 69E1E03C
	s_mov_b32 s61, 1                                           // 00000000CE48: BEBD0081
	s_mul_i32 s60, 16, s7                                      // 00000000CE4C: 923C0790
	v_sub_u32_e64 v240, v240, s61                              // 00000000CE50: D13500F0 00007BF0
	v_add_u32_e32 v240, s60, v240                              // 00000000CE58: 69E1E03C
	v_add_u32_e32 v241, 1, v240                                // 00000000CE5C: 69E3E081
	v_add_u32_e32 v242, 2, v240                                // 00000000CE60: 69E5E082
	v_add_u32_e32 v243, 3, v240                                // 00000000CE64: 69E7E083
	v_cmp_le_u32_e64 s[40:41], v240, v64                       // 00000000CE68: D0CB0028 000281F0
	v_add_u32_e32 v240, 64, v240                               // 00000000CE70: 69E1E0C0
	s_nop 0                                                    // 00000000CE74: BF800000
	v_cndmask_b32_e64 v128, v66, v128, s[40:41]                // 00000000CE78: D1000080 00A30142
	v_cmp_le_u32_e64 s[40:41], v241, v64                       // 00000000CE80: D0CB0028 000281F1
	v_add_u32_e32 v241, 64, v241                               // 00000000CE88: 69E3E2C0
	s_nop 0                                                    // 00000000CE8C: BF800000
	v_cndmask_b32_e64 v129, v66, v129, s[40:41]                // 00000000CE90: D1000081 00A30342
	v_cmp_le_u32_e64 s[40:41], v242, v64                       // 00000000CE98: D0CB0028 000281F2
	v_add_u32_e32 v242, 64, v242                               // 00000000CEA0: 69E5E4C0
	s_nop 0                                                    // 00000000CEA4: BF800000
	v_cndmask_b32_e64 v130, v66, v130, s[40:41]                // 00000000CEA8: D1000082 00A30542
	v_cmp_le_u32_e64 s[40:41], v243, v64                       // 00000000CEB0: D0CB0028 000281F3
	v_add_u32_e32 v243, 64, v243                               // 00000000CEB8: 69E7E6C0
	s_nop 0                                                    // 00000000CEBC: BF800000
	v_cndmask_b32_e64 v131, v66, v131, s[40:41]                // 00000000CEC0: D1000083 00A30742
	v_cmp_le_u32_e64 s[40:41], v240, v64                       // 00000000CEC8: D0CB0028 000281F0
	v_add_u32_e32 v240, 64, v240                               // 00000000CED0: 69E1E0C0
	s_nop 0                                                    // 00000000CED4: BF800000
	v_cndmask_b32_e64 v132, v66, v132, s[40:41]                // 00000000CED8: D1000084 00A30942
	v_cmp_le_u32_e64 s[40:41], v241, v64                       // 00000000CEE0: D0CB0028 000281F1
	v_add_u32_e32 v241, 64, v241                               // 00000000CEE8: 69E3E2C0
	s_nop 0                                                    // 00000000CEEC: BF800000
	v_cndmask_b32_e64 v133, v66, v133, s[40:41]                // 00000000CEF0: D1000085 00A30B42
	v_cmp_le_u32_e64 s[40:41], v242, v64                       // 00000000CEF8: D0CB0028 000281F2
	v_add_u32_e32 v242, 64, v242                               // 00000000CF00: 69E5E4C0
	s_nop 0                                                    // 00000000CF04: BF800000
	v_cndmask_b32_e64 v134, v66, v134, s[40:41]                // 00000000CF08: D1000086 00A30D42
	v_cmp_le_u32_e64 s[40:41], v243, v64                       // 00000000CF10: D0CB0028 000281F3
	v_add_u32_e32 v243, 64, v243                               // 00000000CF18: 69E7E6C0
	s_nop 0                                                    // 00000000CF1C: BF800000
	v_cndmask_b32_e64 v135, v66, v135, s[40:41]                // 00000000CF20: D1000087 00A30F42
	v_cmp_le_u32_e64 s[40:41], v240, v64                       // 00000000CF28: D0CB0028 000281F0
	v_add_u32_e32 v240, 64, v240                               // 00000000CF30: 69E1E0C0
	s_nop 0                                                    // 00000000CF34: BF800000
	v_cndmask_b32_e64 v136, v66, v136, s[40:41]                // 00000000CF38: D1000088 00A31142
	v_cmp_le_u32_e64 s[40:41], v241, v64                       // 00000000CF40: D0CB0028 000281F1
	v_add_u32_e32 v241, 64, v241                               // 00000000CF48: 69E3E2C0
	s_nop 0                                                    // 00000000CF4C: BF800000
	v_cndmask_b32_e64 v137, v66, v137, s[40:41]                // 00000000CF50: D1000089 00A31342
	v_cmp_le_u32_e64 s[40:41], v242, v64                       // 00000000CF58: D0CB0028 000281F2
	v_add_u32_e32 v242, 64, v242                               // 00000000CF60: 69E5E4C0
	s_nop 0                                                    // 00000000CF64: BF800000
	v_cndmask_b32_e64 v138, v66, v138, s[40:41]                // 00000000CF68: D100008A 00A31542
	v_cmp_le_u32_e64 s[40:41], v243, v64                       // 00000000CF70: D0CB0028 000281F3
	v_add_u32_e32 v243, 64, v243                               // 00000000CF78: 69E7E6C0
	s_nop 0                                                    // 00000000CF7C: BF800000
	v_cndmask_b32_e64 v139, v66, v139, s[40:41]                // 00000000CF80: D100008B 00A31742
	v_cmp_le_u32_e64 s[40:41], v240, v64                       // 00000000CF88: D0CB0028 000281F0
	v_add_u32_e32 v240, 64, v240                               // 00000000CF90: 69E1E0C0
	s_nop 0                                                    // 00000000CF94: BF800000
	v_cndmask_b32_e64 v140, v66, v140, s[40:41]                // 00000000CF98: D100008C 00A31942
	v_cmp_le_u32_e64 s[40:41], v241, v64                       // 00000000CFA0: D0CB0028 000281F1
	v_add_u32_e32 v241, 64, v241                               // 00000000CFA8: 69E3E2C0
	s_nop 0                                                    // 00000000CFAC: BF800000
	v_cndmask_b32_e64 v141, v66, v141, s[40:41]                // 00000000CFB0: D100008D 00A31B42
	v_cmp_le_u32_e64 s[40:41], v242, v64                       // 00000000CFB8: D0CB0028 000281F2
	v_add_u32_e32 v242, 64, v242                               // 00000000CFC0: 69E5E4C0
	s_nop 0                                                    // 00000000CFC4: BF800000
	v_cndmask_b32_e64 v142, v66, v142, s[40:41]                // 00000000CFC8: D100008E 00A31D42
	v_cmp_le_u32_e64 s[40:41], v243, v64                       // 00000000CFD0: D0CB0028 000281F3
	v_add_u32_e32 v243, 64, v243                               // 00000000CFD8: 69E7E6C0
	s_nop 0                                                    // 00000000CFDC: BF800000
	v_cndmask_b32_e64 v143, v66, v143, s[40:41]                // 00000000CFE0: D100008F 00A31F42

000000000000cfe8 <label_2B7A>:
	s_add_u32 s90, s91, s90                                    // 00000000CFE8: 805A5A5B
	v_mov_b32_e32 v48, v128                                    // 00000000CFEC: 7E600380
	v_max3_f32 v48, v128, v129, v48                            // 00000000CFF0: D1D30030 04C30380
	v_max3_f32 v48, v130, v131, v48                            // 00000000CFF8: D1D30030 04C30782
	v_max3_f32 v48, v132, v133, v48                            // 00000000D000: D1D30030 04C30B84
	v_max3_f32 v48, v134, v135, v48                            // 00000000D008: D1D30030 04C30F86
	v_max3_f32 v48, v136, v137, v48                            // 00000000D010: D1D30030 04C31388
	v_max3_f32 v48, v138, v139, v48                            // 00000000D018: D1D30030 04C3178A
	v_max3_f32 v48, v140, v141, v48                            // 00000000D020: D1D30030 04C31B8C
	v_max3_f32 v48, v142, v143, v48                            // 00000000D028: D1D30030 04C31F8E
	ds_write_b32 v8, v48 offset:16896                          // 00000000D030: D81A4200 00003008
	v_mul_f32_e32 v216, v50, v216                              // 00000000D038: 0BB1B132
	v_mul_f32_e32 v217, v50, v217                              // 00000000D03C: 0BB3B332
	v_mul_f32_e32 v218, v50, v218                              // 00000000D040: 0BB5B532
	v_mul_f32_e32 v219, v50, v219                              // 00000000D044: 0BB7B732
	v_mul_f32_e32 v220, v50, v220                              // 00000000D048: 0BB9B932
	v_mul_f32_e32 v221, v50, v221                              // 00000000D04C: 0BBBBB32
	v_mul_f32_e32 v222, v50, v222                              // 00000000D050: 0BBDBD32
	v_mul_f32_e32 v223, v50, v223                              // 00000000D054: 0BBFBF32
	s_waitcnt lgkmcnt(0)                                       // 00000000D058: BF8CC07F
	s_barrier                                                  // 00000000D05C: BF8A0000
	ds_read_b32 v64, v7 offset:16896                           // 00000000D060: D86C4200 40000007
	ds_read_b32 v65, v7 offset:16960                           // 00000000D068: D86C4240 41000007
	ds_read_b32 v66, v7 offset:17024                           // 00000000D070: D86C4280 42000007
	ds_read_b32 v67, v7 offset:17088                           // 00000000D078: D86C42C0 43000007
	ds_read_b32 v68, v7 offset:17152                           // 00000000D080: D86C4300 44000007
	ds_read_b32 v69, v7 offset:17216                           // 00000000D088: D86C4340 45000007
	ds_read_b32 v70, v7 offset:17280                           // 00000000D090: D86C4380 46000007
	ds_read_b32 v71, v7 offset:17344                           // 00000000D098: D86C43C0 47000007
	ds_read_b32 v72, v7 offset:17408                           // 00000000D0A0: D86C4400 48000007
	ds_read_b32 v73, v7 offset:17472                           // 00000000D0A8: D86C4440 49000007
	ds_read_b32 v74, v7 offset:17536                           // 00000000D0B0: D86C4480 4A000007
	ds_read_b32 v75, v7 offset:17600                           // 00000000D0B8: D86C44C0 4B000007
	ds_read_b32 v76, v7 offset:17664                           // 00000000D0C0: D86C4500 4C000007
	ds_read_b32 v77, v7 offset:17728                           // 00000000D0C8: D86C4540 4D000007
	ds_read_b32 v78, v7 offset:17792                           // 00000000D0D0: D86C4580 4E000007
	ds_read_b32 v79, v7 offset:17856                           // 00000000D0D8: D86C45C0 4F000007
	v_cvt_f32_i32_e32 v184, v184                               // 00000000D0E0: 7F700BB8
	v_cvt_f32_i32_e32 v185, v185                               // 00000000D0E4: 7F720BB9
	v_cvt_f32_i32_e32 v186, v186                               // 00000000D0E8: 7F740BBA
	v_cvt_f32_i32_e32 v187, v187                               // 00000000D0EC: 7F760BBB
	v_cvt_f32_i32_e32 v188, v188                               // 00000000D0F0: 7F780BBC
	v_cvt_f32_i32_e32 v189, v189                               // 00000000D0F4: 7F7A0BBD
	v_cvt_f32_i32_e32 v190, v190                               // 00000000D0F8: 7F7C0BBE
	v_cvt_f32_i32_e32 v191, v191                               // 00000000D0FC: 7F7E0BBF
	v_mul_f32_e32 v184, v45, v184                              // 00000000D100: 0B71712D
	v_mul_f32_e32 v185, v45, v185                              // 00000000D104: 0B73732D
	v_mul_f32_e32 v186, v45, v186                              // 00000000D108: 0B75752D
	v_mul_f32_e32 v187, v45, v187                              // 00000000D10C: 0B77772D
	v_mul_f32_e32 v188, v45, v188                              // 00000000D110: 0B79792D
	v_mul_f32_e32 v189, v45, v189                              // 00000000D114: 0B7B7B2D
	v_mul_f32_e32 v190, v45, v190                              // 00000000D118: 0B7D7D2D
	v_mul_f32_e32 v191, v45, v191                              // 00000000D11C: 0B7F7F2D
	s_waitcnt lgkmcnt(0)                                       // 00000000D120: BF8CC07F
	v_max3_f32 v48, v64, v65, v48                              // 00000000D124: D1D30030 04C28340
	v_max3_f32 v48, v66, v67, v48                              // 00000000D12C: D1D30030 04C28742
	v_max3_f32 v48, v68, v69, v48                              // 00000000D134: D1D30030 04C28B44
	v_max3_f32 v48, v70, v71, v48                              // 00000000D13C: D1D30030 04C28F46
	v_max3_f32 v48, v72, v73, v48                              // 00000000D144: D1D30030 04C29348
	v_max3_f32 v48, v74, v75, v48                              // 00000000D14C: D1D30030 04C2974A
	v_max3_f32 v48, v76, v77, v48                              // 00000000D154: D1D30030 04C29B4C
	v_max3_f32 v48, v78, v79, v48                              // 00000000D15C: D1D30030 04C29F4E
	v_mov_b32_e32 v64, 0xff800000                              // 00000000D164: 7E8002FF FF800000
	v_cmp_eq_u32_e64 s[40:41], v64, v12                        // 00000000D16C: D0CA0028 00021940
	s_nop 1                                                    // 00000000D174: BF800001
	v_max_f32_e32 v15, v48, v12                                // 00000000D178: 161E1930
	v_mul_f32_e32 v53, s64, v15                                // 00000000D17C: 0A6A1E40
	v_fma_f32 v128, v128, s64, -v53                            // 00000000D180: D1CB0080 84D48180
	v_fma_f32 v129, v129, s64, -v53                            // 00000000D188: D1CB0081 84D48181
	v_fma_f32 v130, v130, s64, -v53                            // 00000000D190: D1CB0082 84D48182
	v_fma_f32 v131, v131, s64, -v53                            // 00000000D198: D1CB0083 84D48183
	v_fma_f32 v132, v132, s64, -v53                            // 00000000D1A0: D1CB0084 84D48184
	v_fma_f32 v133, v133, s64, -v53                            // 00000000D1A8: D1CB0085 84D48185
	v_fma_f32 v134, v134, s64, -v53                            // 00000000D1B0: D1CB0086 84D48186
	v_fma_f32 v135, v135, s64, -v53                            // 00000000D1B8: D1CB0087 84D48187
	v_fma_f32 v136, v136, s64, -v53                            // 00000000D1C0: D1CB0088 84D48188
	v_fma_f32 v137, v137, s64, -v53                            // 00000000D1C8: D1CB0089 84D48189
	v_fma_f32 v138, v138, s64, -v53                            // 00000000D1D0: D1CB008A 84D4818A
	v_fma_f32 v139, v139, s64, -v53                            // 00000000D1D8: D1CB008B 84D4818B
	v_fma_f32 v140, v140, s64, -v53                            // 00000000D1E0: D1CB008C 84D4818C
	v_fma_f32 v141, v141, s64, -v53                            // 00000000D1E8: D1CB008D 84D4818D
	v_fma_f32 v142, v142, s64, -v53                            // 00000000D1F0: D1CB008E 84D4818E
	v_fma_f32 v143, v143, s64, -v53                            // 00000000D1F8: D1CB008F 84D4818F
	v_exp_f32_e32 v128, v128                                   // 00000000D200: 7F004180
	v_exp_f32_e32 v129, v129                                   // 00000000D204: 7F024181
	v_exp_f32_e32 v130, v130                                   // 00000000D208: 7F044182
	v_exp_f32_e32 v131, v131                                   // 00000000D20C: 7F064183
	v_exp_f32_e32 v132, v132                                   // 00000000D210: 7F084184
	v_exp_f32_e32 v133, v133                                   // 00000000D214: 7F0A4185
	v_exp_f32_e32 v134, v134                                   // 00000000D218: 7F0C4186
	v_exp_f32_e32 v135, v135                                   // 00000000D21C: 7F0E4187
	v_exp_f32_e32 v136, v136                                   // 00000000D220: 7F104188
	v_exp_f32_e32 v137, v137                                   // 00000000D224: 7F124189
	v_exp_f32_e32 v138, v138                                   // 00000000D228: 7F14418A
	v_exp_f32_e32 v139, v139                                   // 00000000D22C: 7F16418B
	v_exp_f32_e32 v140, v140                                   // 00000000D230: 7F18418C
	v_exp_f32_e32 v141, v141                                   // 00000000D234: 7F1A418D
	v_exp_f32_e32 v142, v142                                   // 00000000D238: 7F1C418E
	v_exp_f32_e32 v143, v143                                   // 00000000D23C: 7F1E418F
	v_mul_f32_dpp v240, v252, v128 quad_perm:[0,0,0,0] row_mask:0xf bank_mask:0xf// 00000000D240: 0BE100FA FF0000FC
	v_mul_f32_dpp v241, v252, v129 quad_perm:[1,1,1,1] row_mask:0xf bank_mask:0xf// 00000000D248: 0BE302FA FF0055FC
	v_mul_f32_dpp v242, v252, v130 quad_perm:[2,2,2,2] row_mask:0xf bank_mask:0xf// 00000000D250: 0BE504FA FF00AAFC
	v_mul_f32_dpp v243, v252, v131 quad_perm:[3,3,3,3] row_mask:0xf bank_mask:0xf// 00000000D258: 0BE706FA FF00FFFC
	v_mul_f32_dpp v244, v253, v132 quad_perm:[0,0,0,0] row_mask:0xf bank_mask:0xf// 00000000D260: 0BE908FA FF0000FD
	v_mul_f32_dpp v245, v253, v133 quad_perm:[1,1,1,1] row_mask:0xf bank_mask:0xf// 00000000D268: 0BEB0AFA FF0055FD
	v_mul_f32_dpp v246, v253, v134 quad_perm:[2,2,2,2] row_mask:0xf bank_mask:0xf// 00000000D270: 0BED0CFA FF00AAFD
	v_mul_f32_dpp v247, v253, v135 quad_perm:[3,3,3,3] row_mask:0xf bank_mask:0xf// 00000000D278: 0BEF0EFA FF00FFFD
	v_mul_f32_dpp v248, v254, v136 quad_perm:[0,0,0,0] row_mask:0xf bank_mask:0xf// 00000000D280: 0BF110FA FF0000FE
	v_mul_f32_dpp v249, v254, v137 quad_perm:[1,1,1,1] row_mask:0xf bank_mask:0xf// 00000000D288: 0BF312FA FF0055FE
	v_mul_f32_dpp v250, v254, v138 quad_perm:[2,2,2,2] row_mask:0xf bank_mask:0xf// 00000000D290: 0BF514FA FF00AAFE
	v_mul_f32_dpp v251, v254, v139 quad_perm:[3,3,3,3] row_mask:0xf bank_mask:0xf// 00000000D298: 0BF716FA FF00FFFE
	v_mul_f32_dpp v252, v255, v140 quad_perm:[0,0,0,0] row_mask:0xf bank_mask:0xf// 00000000D2A0: 0BF918FA FF0000FF
	v_mul_f32_dpp v253, v255, v141 quad_perm:[1,1,1,1] row_mask:0xf bank_mask:0xf// 00000000D2A8: 0BFB1AFA FF0055FF
	v_mul_f32_dpp v254, v255, v142 quad_perm:[2,2,2,2] row_mask:0xf bank_mask:0xf// 00000000D2B0: 0BFD1CFA FF00AAFF
	v_mul_f32_dpp v255, v255, v143 quad_perm:[3,3,3,3] row_mask:0xf bank_mask:0xf// 00000000D2B8: 0BFF1EFA FF00FFFF
	v_mov_b32_e32 v48, 0x358637bd                              // 00000000D2C0: 7E6002FF 358637BD
	v_max3_f32 v48, |v240|, |v241|, v48                        // 00000000D2C8: D1D30330 04C3E3F0
	v_max3_f32 v48, |v242|, |v243|, v48                        // 00000000D2D0: D1D30330 04C3E7F2
	v_max3_f32 v48, |v244|, |v245|, v48                        // 00000000D2D8: D1D30330 04C3EBF4
	v_max3_f32 v48, |v246|, |v247|, v48                        // 00000000D2E0: D1D30330 04C3EFF6
	v_max3_f32 v48, |v248|, |v249|, v48                        // 00000000D2E8: D1D30330 04C3F3F8
	v_max3_f32 v48, |v250|, |v251|, v48                        // 00000000D2F0: D1D30330 04C3F7FA
	v_max3_f32 v48, |v252|, |v253|, v48                        // 00000000D2F8: D1D30330 04C3FBFC
	v_max3_f32 v48, |v254|, |v255|, v48                        // 00000000D300: D1D30330 04C3FFFE
	ds_write_b32 v8, v48 offset:20992                          // 00000000D308: D81A5200 00003008
	v_sub_f32_e32 v50, v12, v15                                // 00000000D310: 04641F0C
	v_cndmask_b32_e64 v50, v50, 0, s[40:41]                    // 00000000D314: D1000032 00A10132
	v_mov_b32_e32 v12, v15                                     // 00000000D31C: 7E18030F
	v_mul_f32_e32 v50, s64, v50                                // 00000000D320: 0A646440
	v_exp_f32_e32 v50, v50                                     // 00000000D324: 7E644132
	s_waitcnt lgkmcnt(0)                                       // 00000000D328: BF8CC07F
	s_barrier                                                  // 00000000D32C: BF8A0000
	ds_read_b32 v64, v7 offset:20992                           // 00000000D330: D86C5200 40000007
	ds_read_b32 v65, v7 offset:21056                           // 00000000D338: D86C5240 41000007
	ds_read_b32 v66, v7 offset:21120                           // 00000000D340: D86C5280 42000007
	ds_read_b32 v67, v7 offset:21184                           // 00000000D348: D86C52C0 43000007
	ds_read_b32 v68, v7 offset:21248                           // 00000000D350: D86C5300 44000007
	ds_read_b32 v69, v7 offset:21312                           // 00000000D358: D86C5340 45000007
	ds_read_b32 v70, v7 offset:21376                           // 00000000D360: D86C5380 46000007
	ds_read_b32 v71, v7 offset:21440                           // 00000000D368: D86C53C0 47000007
	ds_read_b32 v72, v7 offset:21504                           // 00000000D370: D86C5400 48000007
	ds_read_b32 v73, v7 offset:21568                           // 00000000D378: D86C5440 49000007
	ds_read_b32 v74, v7 offset:21632                           // 00000000D380: D86C5480 4A000007
	ds_read_b32 v75, v7 offset:21696                           // 00000000D388: D86C54C0 4B000007
	ds_read_b32 v76, v7 offset:21760                           // 00000000D390: D86C5500 4C000007
	ds_read_b32 v77, v7 offset:21824                           // 00000000D398: D86C5540 4D000007
	ds_read_b32 v78, v7 offset:21888                           // 00000000D3A0: D86C5580 4E000007
	ds_read_b32 v79, v7 offset:21952                           // 00000000D3A8: D86C55C0 4F000007
	v_mul_f32_e32 v39, v50, v39                                // 00000000D3B0: 0A4E4F32
	v_mov_b32_e32 v15, v128                                    // 00000000D3B4: 7E1E0380
	v_add_f32_e32 v15, v129, v15                               // 00000000D3B8: 021E1F81
	v_add_f32_e32 v15, v130, v15                               // 00000000D3BC: 021E1F82
	v_add_f32_e32 v15, v131, v15                               // 00000000D3C0: 021E1F83
	v_add_f32_e32 v15, v132, v15                               // 00000000D3C4: 021E1F84
	v_add_f32_e32 v15, v133, v15                               // 00000000D3C8: 021E1F85
	v_add_f32_e32 v15, v134, v15                               // 00000000D3CC: 021E1F86
	v_add_f32_e32 v15, v135, v15                               // 00000000D3D0: 021E1F87
	v_add_f32_e32 v15, v136, v15                               // 00000000D3D4: 021E1F88
	v_add_f32_e32 v15, v137, v15                               // 00000000D3D8: 021E1F89
	v_add_f32_e32 v15, v138, v15                               // 00000000D3DC: 021E1F8A
	v_add_f32_e32 v15, v139, v15                               // 00000000D3E0: 021E1F8B
	v_add_f32_e32 v15, v140, v15                               // 00000000D3E4: 021E1F8C
	v_add_f32_e32 v15, v141, v15                               // 00000000D3E8: 021E1F8D
	v_add_f32_e32 v15, v142, v15                               // 00000000D3EC: 021E1F8E
	v_add_f32_e32 v15, v143, v15                               // 00000000D3F0: 021E1F8F
	v_add_f32_e32 v39, v15, v39                                // 00000000D3F4: 024E4F0F
	s_waitcnt lgkmcnt(0)                                       // 00000000D3F8: BF8CC07F
	v_max3_f32 v48, |v64|, |v65|, v48                          // 00000000D3FC: D1D30330 04C28340
	v_max3_f32 v48, |v66|, |v67|, v48                          // 00000000D404: D1D30330 04C28742
	v_max3_f32 v48, |v68|, |v69|, v48                          // 00000000D40C: D1D30330 04C28B44
	v_max3_f32 v48, |v70|, |v71|, v48                          // 00000000D414: D1D30330 04C28F46
	v_max3_f32 v48, |v72|, |v73|, v48                          // 00000000D41C: D1D30330 04C29348
	v_max3_f32 v48, |v74|, |v75|, v48                          // 00000000D424: D1D30330 04C2974A
	v_max3_f32 v48, |v76|, |v77|, v48                          // 00000000D42C: D1D30330 04C29B4C
	v_max3_f32 v48, |v78|, |v79|, v48                          // 00000000D434: D1D30330 04C29F4E
	s_nop 2                                                    // 00000000D43C: BF800002
	v_rcp_f32_e32 v48, v48                                     // 00000000D440: 7E604530
	s_nop 1                                                    // 00000000D444: BF800001
	v_mul_f32_e32 v48, 0x42fe0000, v48                         // 00000000D448: 0A6060FF 42FE0000
	v_mul_f32_e32 v128, v48, v240                              // 00000000D450: 0B01E130
	v_mul_f32_e32 v129, v48, v241                              // 00000000D454: 0B03E330
	v_mul_f32_e32 v130, v48, v242                              // 00000000D458: 0B05E530
	v_mul_f32_e32 v131, v48, v243                              // 00000000D45C: 0B07E730
	v_mul_f32_e32 v132, v48, v244                              // 00000000D460: 0B09E930
	v_mul_f32_e32 v133, v48, v245                              // 00000000D464: 0B0BEB30
	v_mul_f32_e32 v134, v48, v246                              // 00000000D468: 0B0DED30
	v_mul_f32_e32 v135, v48, v247                              // 00000000D46C: 0B0FEF30
	v_mul_f32_e32 v136, v48, v248                              // 00000000D470: 0B11F130
	v_mul_f32_e32 v137, v48, v249                              // 00000000D474: 0B13F330
	v_mul_f32_e32 v138, v48, v250                              // 00000000D478: 0B15F530
	v_mul_f32_e32 v139, v48, v251                              // 00000000D47C: 0B17F730
	v_mul_f32_e32 v140, v48, v252                              // 00000000D480: 0B19F930
	v_mul_f32_e32 v141, v48, v253                              // 00000000D484: 0B1BFB30
	v_mul_f32_e32 v142, v48, v254                              // 00000000D488: 0B1DFD30
	v_mul_f32_e32 v143, v48, v255                              // 00000000D48C: 0B1FFF30
	v_cvt_i32_f32_e32 v128, v128                               // 00000000D490: 7F001180
	v_cvt_i32_f32_e32 v129, v129                               // 00000000D494: 7F021181
	v_cvt_i32_f32_e32 v130, v130                               // 00000000D498: 7F041182
	v_cvt_i32_f32_e32 v131, v131                               // 00000000D49C: 7F061183
	v_cvt_i32_f32_e32 v132, v132                               // 00000000D4A0: 7F081184
	v_cvt_i32_f32_e32 v133, v133                               // 00000000D4A4: 7F0A1185
	v_cvt_i32_f32_e32 v134, v134                               // 00000000D4A8: 7F0C1186
	v_cvt_i32_f32_e32 v135, v135                               // 00000000D4AC: 7F0E1187
	v_cvt_i32_f32_e32 v136, v136                               // 00000000D4B0: 7F101188
	v_cvt_i32_f32_e32 v137, v137                               // 00000000D4B4: 7F121189
	v_cvt_i32_f32_e32 v138, v138                               // 00000000D4B8: 7F14118A
	v_cvt_i32_f32_e32 v139, v139                               // 00000000D4BC: 7F16118B
	v_cvt_i32_f32_e32 v140, v140                               // 00000000D4C0: 7F18118C
	v_cvt_i32_f32_e32 v141, v141                               // 00000000D4C4: 7F1A118D
	v_cvt_i32_f32_e32 v142, v142                               // 00000000D4C8: 7F1C118E
	v_cvt_i32_f32_e32 v143, v143                               // 00000000D4CC: 7F1E118F
	v_perm_b32 v128, v129, v128, s53                           // 00000000D4D0: D1ED0080 00D70181
	v_perm_b32 v128, v130, v128, s54                           // 00000000D4D8: D1ED0080 00DB0182
	v_perm_b32 v128, v131, v128, s55                           // 00000000D4E0: D1ED0080 00DF0183
	v_perm_b32 v129, v133, v132, s53                           // 00000000D4E8: D1ED0081 00D70985
	v_perm_b32 v129, v134, v129, s54                           // 00000000D4F0: D1ED0081 00DB0386
	v_perm_b32 v129, v135, v129, s55                           // 00000000D4F8: D1ED0081 00DF0387
	v_perm_b32 v130, v137, v136, s53                           // 00000000D500: D1ED0082 00D71189
	v_perm_b32 v130, v138, v130, s54                           // 00000000D508: D1ED0082 00DB058A
	v_perm_b32 v130, v139, v130, s55                           // 00000000D510: D1ED0082 00DF058B
	v_perm_b32 v131, v141, v140, s53                           // 00000000D518: D1ED0083 00D7198D
	v_perm_b32 v131, v142, v131, s54                           // 00000000D520: D1ED0083 00DB078E
	v_perm_b32 v131, v143, v131, s55                           // 00000000D528: D1ED0083 00DF078F
	ds_write_b32 v10, v128 offset:29184                        // 00000000D530: D81A7200 0000800A
	ds_write_b32 v10, v129 offset:30208                        // 00000000D538: D81A7600 0000810A
	ds_write_b32 v10, v130 offset:31232                        // 00000000D540: D81A7A00 0000820A
	ds_write_b32 v10, v131 offset:32256                        // 00000000D548: D81A7E00 0000830A
	v_add_f32_e32 v216, v216, v184                             // 00000000D550: 03B171D8
	v_add_f32_e32 v217, v217, v185                             // 00000000D554: 03B373D9
	v_add_f32_e32 v218, v218, v186                             // 00000000D558: 03B575DA
	v_add_f32_e32 v219, v219, v187                             // 00000000D55C: 03B777DB
	v_add_f32_e32 v220, v220, v188                             // 00000000D560: 03B979DC
	v_add_f32_e32 v221, v221, v189                             // 00000000D564: 03BB7BDD
	v_add_f32_e32 v222, v222, v190                             // 00000000D568: 03BD7DDE
	v_add_f32_e32 v223, v223, v191                             // 00000000D56C: 03BF7FDF
	v_rcp_f32_e32 v45, v48                                     // 00000000D570: 7E5A4530
	s_waitcnt lgkmcnt(0)                                       // 00000000D574: BF8CC07F
	s_barrier                                                  // 00000000D578: BF8A0000
	ds_read_b64 v[128:129], v9 offset:29184                    // 00000000D57C: D8EC7200 80000009
	ds_read_b64 v[130:131], v9 offset:29312                    // 00000000D584: D8EC7280 82000009
	ds_read_b64 v[132:133], v9 offset:30208                    // 00000000D58C: D8EC7600 84000009
	ds_read_b64 v[134:135], v9 offset:30336                    // 00000000D594: D8EC7680 86000009
	ds_read_b64 v[136:137], v9 offset:31232                    // 00000000D59C: D8EC7A00 88000009
	ds_read_b64 v[138:139], v9 offset:31360                    // 00000000D5A4: D8EC7A80 8A000009
	ds_read_b64 v[140:141], v9 offset:32256                    // 00000000D5AC: D8EC7E00 8C000009
	ds_read_b64 v[142:143], v9 offset:32384                    // 00000000D5B4: D8EC7E80 8E000009
	s_waitcnt vmcnt(15)                                        // 00000000D5BC: BF8C0F7F
	v_mfma_i32_16x16x32_i8 v[176:179], a[96:97], v[112:113], 0 // 00000000D5C0: D3D700B0 0A02E160
	buffer_load_dwordx4 a[80:83], v30, s[20:23], 0 offen offset:1024// 00000000D5C8: E05C1400 8085501E
	v_mfma_i32_16x16x32_i8 v[176:179], a[98:99], v[114:115], v[176:179]// 00000000D5D0: D3D700B0 0EC2E562
	v_mfma_i32_16x16x32_i8 v[176:179], a[100:101], v[116:117], v[176:179]// 00000000D5D8: D3D700B0 0EC2E964
	v_mfma_i32_16x16x32_i8 v[176:179], a[102:103], v[118:119], v[176:179]// 00000000D5E0: D3D700B0 0EC2ED66
	v_mfma_i32_16x16x32_i8 v[176:179], a[104:105], v[120:121], v[176:179]// 00000000D5E8: D3D700B0 0EC2F168
	buffer_load_dwordx4 a[84:87], v31, s[20:23], 0 offen offset:1024// 00000000D5F0: E05C1400 8085541F
	v_mfma_i32_16x16x32_i8 v[176:179], a[106:107], v[122:123], v[176:179]// 00000000D5F8: D3D700B0 0EC2F56A
	v_mfma_i32_16x16x32_i8 v[176:179], a[108:109], v[124:125], v[176:179]// 00000000D600: D3D700B0 0EC2F96C
	v_mfma_i32_16x16x32_i8 v[176:179], a[110:111], v[126:127], v[176:179]// 00000000D608: D3D700B0 0EC2FD6E
	v_mfma_i32_16x16x32_i8 v[180:183], a[112:113], v[112:113], 0// 00000000D610: D3D700B4 0A02E170
	buffer_load_dwordx4 a[88:91], v32, s[20:23], 0 offen offset:1024// 00000000D618: E05C1400 80855820
	v_mfma_i32_16x16x32_i8 v[180:183], a[114:115], v[114:115], v[180:183]// 00000000D620: D3D700B4 0ED2E572
	v_mfma_i32_16x16x32_i8 v[180:183], a[116:117], v[116:117], v[180:183]// 00000000D628: D3D700B4 0ED2E974
	v_mfma_i32_16x16x32_i8 v[180:183], a[118:119], v[118:119], v[180:183]// 00000000D630: D3D700B4 0ED2ED76
	v_mfma_i32_16x16x32_i8 v[180:183], a[120:121], v[120:121], v[180:183]// 00000000D638: D3D700B4 0ED2F178
	buffer_load_dwordx4 a[92:95], v33, s[20:23], 0 offen offset:1024// 00000000D640: E05C1400 80855C21
	v_mfma_i32_16x16x32_i8 v[180:183], a[122:123], v[122:123], v[180:183]// 00000000D648: D3D700B4 0ED2F57A
	v_mfma_i32_16x16x32_i8 v[180:183], a[124:125], v[124:125], v[180:183]// 00000000D650: D3D700B4 0ED2F97C
	s_lshr_b32 s57, s70, 4                                     // 00000000D658: 8F398446
	s_add_u32 s57, 48, s57                                     // 00000000D65C: 803939B0
	v_mfma_i32_16x16x32_i8 v[180:183], a[126:127], v[126:127], v[180:183]// 00000000D660: D3D700B4 0ED2FD7E
	s_cmp_ge_u32 s57, s73                                      // 00000000D668: BF094939
	s_cselect_b32 s56, 0, s56                                  // 00000000D66C: 85383880
	v_mfma_i32_16x16x32_i8 v[184:187], a[96:97], v[128:129], 0 // 00000000D670: D3D700B8 0A030160
	v_mfma_i32_16x16x32_i8 v[184:187], a[98:99], v[130:131], v[184:187]// 00000000D678: D3D700B8 0EE30562
	v_mfma_i32_16x16x32_i8 v[184:187], a[100:101], v[132:133], v[184:187]// 00000000D680: D3D700B8 0EE30964
	v_mfma_i32_16x16x32_i8 v[184:187], a[102:103], v[134:135], v[184:187]// 00000000D688: D3D700B8 0EE30D66
	v_mfma_i32_16x16x32_i8 v[184:187], a[104:105], v[136:137], v[184:187]// 00000000D690: D3D700B8 0EE31168
	v_mfma_i32_16x16x32_i8 v[184:187], a[106:107], v[138:139], v[184:187]// 00000000D698: D3D700B8 0EE3156A
	v_mfma_i32_16x16x32_i8 v[184:187], a[108:109], v[140:141], v[184:187]// 00000000D6A0: D3D700B8 0EE3196C
	v_mfma_i32_16x16x32_i8 v[184:187], a[110:111], v[142:143], v[184:187]// 00000000D6A8: D3D700B8 0EE31D6E
	v_mfma_i32_16x16x32_i8 v[188:191], a[112:113], v[128:129], 0// 00000000D6B0: D3D700BC 0A030170
	v_mfma_i32_16x16x32_i8 v[188:191], a[114:115], v[130:131], v[188:191]// 00000000D6B8: D3D700BC 0EF30572
	v_mfma_i32_16x16x32_i8 v[188:191], a[116:117], v[132:133], v[188:191]// 00000000D6C0: D3D700BC 0EF30974
	v_mfma_i32_16x16x32_i8 v[188:191], a[118:119], v[134:135], v[188:191]// 00000000D6C8: D3D700BC 0EF30D76
	v_mfma_i32_16x16x32_i8 v[188:191], a[120:121], v[136:137], v[188:191]// 00000000D6D0: D3D700BC 0EF31178
	v_mfma_i32_16x16x32_i8 v[188:191], a[122:123], v[138:139], v[188:191]// 00000000D6D8: D3D700BC 0EF3157A
	v_mfma_i32_16x16x32_i8 v[188:191], a[124:125], v[140:141], v[188:191]// 00000000D6E0: D3D700BC 0EF3197C
	v_mfma_i32_16x16x32_i8 v[188:191], a[126:127], v[142:143], v[188:191]// 00000000D6E8: D3D700BC 0EF31D7E
	v_add_u32_e32 v1, s56, v1                                  // 00000000D6F0: 68020238
	s_addk_i32 s70, 0x100                                      // 00000000D6F4: B7460100
	s_cmp_lt_i32 s70, s71                                      // 00000000D6F8: BF044746
	s_cbranch_scc0 label_2233                                  // 00000000D6FC: BF84F4F3
	s_branch label_2236                                        // 00000000D700: BF82F4F5

000000000000d704 <label_2D41>:
	s_lshr_b32 s60, s71, 4                                     // 00000000D704: 8F3C8447
	s_cmp_eq_i32 s60, s73                                      // 00000000D708: BF00493C
	s_cbranch_scc1 label_398A                                  // 00000000D70C: BF850C46
	s_lshr_b32 s60, s71, 8                                     // 00000000D710: 8F3C8847
	s_and_b32 s60, s60, 1                                      // 00000000D714: 863C813C
	s_cmp_eq_i32 s60, 1                                        // 00000000D718: BF00813C
	s_cbranch_scc1 label_3369                                  // 00000000D71C: BF850621
	s_waitcnt vmcnt(8) lgkmcnt(0)                              // 00000000D720: BF8C0078
	s_barrier                                                  // 00000000D724: BF8A0000
	v_mfma_i32_16x16x32_i8 v[112:115], a[0:1], v[80:81], 0     // 00000000D728: D3D70070 0A02A100
	v_mfma_i32_16x16x32_i8 v[112:115], a[2:3], v[82:83], v[112:115]// 00000000D730: D3D70070 0DC2A502
	v_mfma_i32_16x16x32_i8 v[112:115], a[4:5], v[84:85], v[112:115]// 00000000D738: D3D70070 0DC2A904
	v_mfma_i32_16x16x32_i8 v[112:115], a[6:7], v[86:87], v[112:115]// 00000000D740: D3D70070 0DC2AD06
	v_mfma_i32_16x16x32_i8 v[116:119], a[8:9], v[80:81], 0     // 00000000D748: D3D70074 0A02A108
	v_mfma_i32_16x16x32_i8 v[116:119], a[10:11], v[82:83], v[116:119]// 00000000D750: D3D70074 0DD2A50A
	v_mfma_i32_16x16x32_i8 v[116:119], a[12:13], v[84:85], v[116:119]// 00000000D758: D3D70074 0DD2A90C
	v_mfma_i32_16x16x32_i8 v[116:119], a[14:15], v[86:87], v[116:119]// 00000000D760: D3D70074 0DD2AD0E
	v_mfma_i32_16x16x32_i8 v[120:123], a[16:17], v[80:81], 0   // 00000000D768: D3D70078 0A02A110
	v_mfma_i32_16x16x32_i8 v[120:123], a[18:19], v[82:83], v[120:123]// 00000000D770: D3D70078 0DE2A512
	v_mfma_i32_16x16x32_i8 v[120:123], a[20:21], v[84:85], v[120:123]// 00000000D778: D3D70078 0DE2A914
	v_mfma_i32_16x16x32_i8 v[120:123], a[22:23], v[86:87], v[120:123]// 00000000D780: D3D70078 0DE2AD16
	v_mfma_i32_16x16x32_i8 v[124:127], a[24:25], v[80:81], 0   // 00000000D788: D3D7007C 0A02A118
	v_mfma_i32_16x16x32_i8 v[124:127], a[26:27], v[82:83], v[124:127]// 00000000D790: D3D7007C 0DF2A51A
	v_mfma_i32_16x16x32_i8 v[124:127], a[28:29], v[84:85], v[124:127]// 00000000D798: D3D7007C 0DF2A91C
	v_mfma_i32_16x16x32_i8 v[124:127], a[30:31], v[86:87], v[124:127]// 00000000D7A0: D3D7007C 0DF2AD1E
	v_mfma_i32_16x16x32_i8 v[128:131], a[0:1], v[88:89], 0     // 00000000D7A8: D3D70080 0A02B100
	v_mfma_i32_16x16x32_i8 v[128:131], a[2:3], v[90:91], v[128:131]// 00000000D7B0: D3D70080 0E02B502
	v_mfma_i32_16x16x32_i8 v[128:131], a[4:5], v[92:93], v[128:131]// 00000000D7B8: D3D70080 0E02B904
	v_mfma_i32_16x16x32_i8 v[128:131], a[6:7], v[94:95], v[128:131]// 00000000D7C0: D3D70080 0E02BD06
	v_mfma_i32_16x16x32_i8 v[132:135], a[8:9], v[88:89], 0     // 00000000D7C8: D3D70084 0A02B108
	v_mfma_i32_16x16x32_i8 v[132:135], a[10:11], v[90:91], v[132:135]// 00000000D7D0: D3D70084 0E12B50A
	v_mfma_i32_16x16x32_i8 v[132:135], a[12:13], v[92:93], v[132:135]// 00000000D7D8: D3D70084 0E12B90C
	v_mfma_i32_16x16x32_i8 v[132:135], a[14:15], v[94:95], v[132:135]// 00000000D7E0: D3D70084 0E12BD0E
	v_mfma_i32_16x16x32_i8 v[136:139], a[16:17], v[88:89], 0   // 00000000D7E8: D3D70088 0A02B110
	v_mfma_i32_16x16x32_i8 v[136:139], a[18:19], v[90:91], v[136:139]// 00000000D7F0: D3D70088 0E22B512
	v_mfma_i32_16x16x32_i8 v[136:139], a[20:21], v[92:93], v[136:139]// 00000000D7F8: D3D70088 0E22B914
	v_mfma_i32_16x16x32_i8 v[136:139], a[22:23], v[94:95], v[136:139]// 00000000D800: D3D70088 0E22BD16
	v_mfma_i32_16x16x32_i8 v[140:143], a[24:25], v[88:89], 0   // 00000000D808: D3D7008C 0A02B118
	v_mfma_i32_16x16x32_i8 v[140:143], a[26:27], v[90:91], v[140:143]// 00000000D810: D3D7008C 0E32B51A
	v_mfma_i32_16x16x32_i8 v[140:143], a[28:29], v[92:93], v[140:143]// 00000000D818: D3D7008C 0E32B91C
	v_mfma_i32_16x16x32_i8 v[140:143], a[30:31], v[94:95], v[140:143]// 00000000D820: D3D7008C 0E32BD1E
	v_mov_b32_dpp v64, v42 row_shr:4 row_mask:0xf bank_mask:0xf// 00000000D828: 7E8002FA FF01142A
	v_mov_b32_dpp v65, v42 row_shl:4 row_mask:0xf bank_mask:0xf// 00000000D830: 7E8202FA FF01042A
	v_cndmask_b32_e64 v248, v42, v64, s[44:45]                 // 00000000D838: D10000F8 00B2812A
	v_cndmask_b32_e64 v249, v65, v42, s[44:45]                 // 00000000D840: D10000F9 00B25541
	v_mov_b32_dpp v64, v248 row_shr:8 row_mask:0xf bank_mask:0xf// 00000000D848: 7E8002FA FF0118F8
	v_mov_b32_dpp v65, v248 row_shl:8 row_mask:0xf bank_mask:0xf// 00000000D850: 7E8202FA FF0108F8
	v_mov_b32_dpp v66, v249 row_shr:8 row_mask:0xf bank_mask:0xf// 00000000D858: 7E8402FA FF0118F9
	v_mov_b32_dpp v67, v249 row_shl:8 row_mask:0xf bank_mask:0xf// 00000000D860: 7E8602FA FF0108F9
	v_mov_b32_e32 v68, v248                                    // 00000000D868: 7E8803F8
	v_mov_b32_e32 v69, v249                                    // 00000000D86C: 7E8A03F9
	v_cndmask_b32_e64 v248, v68, v64, s[42:43]                 // 00000000D870: D10000F8 00AA8144
	v_cndmask_b32_e64 v250, v68, v65, s[78:79]                 // 00000000D878: D10000FA 013A8344
	v_cndmask_b32_e64 v249, v69, v66, s[42:43]                 // 00000000D880: D10000F9 00AA8545
	v_cndmask_b32_e64 v251, v69, v67, s[78:79]                 // 00000000D888: D10000FB 013A8745
	v_mov_b32_dpp v64, v57 row_shr:4 row_mask:0xf bank_mask:0xf// 00000000D890: 7E8002FA FF011439
	v_mov_b32_dpp v65, v57 row_shl:4 row_mask:0xf bank_mask:0xf// 00000000D898: 7E8202FA FF010439
	v_cndmask_b32_e64 v252, v57, v64, s[44:45]                 // 00000000D8A0: D10000FC 00B28139
	v_cndmask_b32_e64 v253, v65, v57, s[44:45]                 // 00000000D8A8: D10000FD 00B27341
	v_mov_b32_dpp v64, v252 row_shr:8 row_mask:0xf bank_mask:0xf// 00000000D8B0: 7E8002FA FF0118FC
	v_mov_b32_dpp v65, v252 row_shl:8 row_mask:0xf bank_mask:0xf// 00000000D8B8: 7E8202FA FF0108FC
	v_mov_b32_dpp v66, v253 row_shr:8 row_mask:0xf bank_mask:0xf// 00000000D8C0: 7E8402FA FF0118FD
	v_mov_b32_dpp v67, v253 row_shl:8 row_mask:0xf bank_mask:0xf// 00000000D8C8: 7E8602FA FF0108FD
	v_mov_b32_e32 v68, v252                                    // 00000000D8D0: 7E8803FC
	v_mov_b32_e32 v69, v253                                    // 00000000D8D4: 7E8A03FD
	v_cndmask_b32_e64 v252, v68, v64, s[42:43]                 // 00000000D8D8: D10000FC 00AA8144
	v_cndmask_b32_e64 v254, v68, v65, s[78:79]                 // 00000000D8E0: D10000FE 013A8344
	v_cndmask_b32_e64 v253, v69, v66, s[42:43]                 // 00000000D8E8: D10000FD 00AA8545
	v_cndmask_b32_e64 v255, v69, v67, s[78:79]                 // 00000000D8F0: D10000FF 013A8745
	v_cvt_f32_i32_e32 v112, v112                               // 00000000D8F8: 7EE00B70
	v_cvt_f32_i32_e32 v113, v113                               // 00000000D8FC: 7EE20B71
	v_cvt_f32_i32_e32 v114, v114                               // 00000000D900: 7EE40B72
	v_cvt_f32_i32_e32 v115, v115                               // 00000000D904: 7EE60B73
	v_cvt_f32_i32_e32 v116, v116                               // 00000000D908: 7EE80B74
	v_cvt_f32_i32_e32 v117, v117                               // 00000000D90C: 7EEA0B75
	v_cvt_f32_i32_e32 v118, v118                               // 00000000D910: 7EEC0B76
	v_cvt_f32_i32_e32 v119, v119                               // 00000000D914: 7EEE0B77
	v_cvt_f32_i32_e32 v120, v120                               // 00000000D918: 7EF00B78
	v_cvt_f32_i32_e32 v121, v121                               // 00000000D91C: 7EF20B79
	v_cvt_f32_i32_e32 v122, v122                               // 00000000D920: 7EF40B7A
	v_cvt_f32_i32_e32 v123, v123                               // 00000000D924: 7EF60B7B
	v_cvt_f32_i32_e32 v124, v124                               // 00000000D928: 7EF80B7C
	v_cvt_f32_i32_e32 v125, v125                               // 00000000D92C: 7EFA0B7D
	v_cvt_f32_i32_e32 v126, v126                               // 00000000D930: 7EFC0B7E
	v_cvt_f32_i32_e32 v127, v127                               // 00000000D934: 7EFE0B7F
	v_mul_f32_e32 v112, v18, v112                              // 00000000D938: 0AE0E112
	v_mul_f32_e32 v113, v18, v113                              // 00000000D93C: 0AE2E312
	v_mul_f32_e32 v114, v18, v114                              // 00000000D940: 0AE4E512
	v_mul_f32_e32 v115, v18, v115                              // 00000000D944: 0AE6E712
	v_mul_f32_e32 v116, v18, v116                              // 00000000D948: 0AE8E912
	v_mul_f32_e32 v117, v18, v117                              // 00000000D94C: 0AEAEB12
	v_mul_f32_e32 v118, v18, v118                              // 00000000D950: 0AECED12
	v_mul_f32_e32 v119, v18, v119                              // 00000000D954: 0AEEEF12
	v_mul_f32_e32 v120, v18, v120                              // 00000000D958: 0AF0F112
	v_mul_f32_e32 v121, v18, v121                              // 00000000D95C: 0AF2F312
	v_mul_f32_e32 v122, v18, v122                              // 00000000D960: 0AF4F512
	v_mul_f32_e32 v123, v18, v123                              // 00000000D964: 0AF6F712
	v_mul_f32_e32 v124, v18, v124                              // 00000000D968: 0AF8F912
	v_mul_f32_e32 v125, v18, v125                              // 00000000D96C: 0AFAFB12
	v_mul_f32_e32 v126, v18, v126                              // 00000000D970: 0AFCFD12
	v_mul_f32_e32 v127, v18, v127                              // 00000000D974: 0AFEFF12
	v_mul_f32_dpp v112, v248, v112 quad_perm:[0,0,0,0] row_mask:0xf bank_mask:0xf// 00000000D978: 0AE0E0FA FF0000F8
	v_mul_f32_dpp v113, v248, v113 quad_perm:[1,1,1,1] row_mask:0xf bank_mask:0xf// 00000000D980: 0AE2E2FA FF0055F8
	v_mul_f32_dpp v114, v248, v114 quad_perm:[2,2,2,2] row_mask:0xf bank_mask:0xf// 00000000D988: 0AE4E4FA FF00AAF8
	v_mul_f32_dpp v115, v248, v115 quad_perm:[3,3,3,3] row_mask:0xf bank_mask:0xf// 00000000D990: 0AE6E6FA FF00FFF8
	v_mul_f32_dpp v116, v249, v116 quad_perm:[0,0,0,0] row_mask:0xf bank_mask:0xf// 00000000D998: 0AE8E8FA FF0000F9
	v_mul_f32_dpp v117, v249, v117 quad_perm:[1,1,1,1] row_mask:0xf bank_mask:0xf// 00000000D9A0: 0AEAEAFA FF0055F9
	v_mul_f32_dpp v118, v249, v118 quad_perm:[2,2,2,2] row_mask:0xf bank_mask:0xf// 00000000D9A8: 0AECECFA FF00AAF9
	v_mul_f32_dpp v119, v249, v119 quad_perm:[3,3,3,3] row_mask:0xf bank_mask:0xf// 00000000D9B0: 0AEEEEFA FF00FFF9
	v_mul_f32_dpp v120, v250, v120 quad_perm:[0,0,0,0] row_mask:0xf bank_mask:0xf// 00000000D9B8: 0AF0F0FA FF0000FA
	v_mul_f32_dpp v121, v250, v121 quad_perm:[1,1,1,1] row_mask:0xf bank_mask:0xf// 00000000D9C0: 0AF2F2FA FF0055FA
	v_mul_f32_dpp v122, v250, v122 quad_perm:[2,2,2,2] row_mask:0xf bank_mask:0xf// 00000000D9C8: 0AF4F4FA FF00AAFA
	v_mul_f32_dpp v123, v250, v123 quad_perm:[3,3,3,3] row_mask:0xf bank_mask:0xf// 00000000D9D0: 0AF6F6FA FF00FFFA
	v_mul_f32_dpp v124, v251, v124 quad_perm:[0,0,0,0] row_mask:0xf bank_mask:0xf// 00000000D9D8: 0AF8F8FA FF0000FB
	v_mul_f32_dpp v125, v251, v125 quad_perm:[1,1,1,1] row_mask:0xf bank_mask:0xf// 00000000D9E0: 0AFAFAFA FF0055FB
	v_mul_f32_dpp v126, v251, v126 quad_perm:[2,2,2,2] row_mask:0xf bank_mask:0xf// 00000000D9E8: 0AFCFCFA FF00AAFB
	v_mul_f32_dpp v127, v251, v127 quad_perm:[3,3,3,3] row_mask:0xf bank_mask:0xf// 00000000D9F0: 0AFEFEFA FF00FFFB
	s_cmp_le_i32 s90, s89                                      // 00000000D9F8: BF05595A
	s_cbranch_scc1 label_2E71                                  // 00000000D9FC: BF850071
	v_mov_b32_e32 v66, 0xff800000                              // 00000000DA00: 7E8402FF FF800000
	s_mov_b32 s60, s90                                         // 00000000DA08: BEBC005A
	s_add_u32 s61, s89, 0xff                                   // 00000000DA0C: 803DFF59 000000FF
	v_mov_b32_e32 v64, s61                                     // 00000000DA14: 7E80023D
	v_lshrrev_b32_e32 v240, 4, v0                              // 00000000DA18: 21E00084
	v_mul_i32_i24_e32 v240, 4, v240                            // 00000000DA1C: 0DE1E084
	v_add_u32_e32 v240, s60, v240                              // 00000000DA20: 69E1E03C
	s_mov_b32 s61, 0                                           // 00000000DA24: BEBD0080
	s_mul_i32 s60, 16, s7                                      // 00000000DA28: 923C0790
	v_sub_u32_e64 v240, v240, s61                              // 00000000DA2C: D13500F0 00007BF0
	v_add_u32_e32 v240, s60, v240                              // 00000000DA34: 69E1E03C
	v_add_u32_e32 v241, 1, v240                                // 00000000DA38: 69E3E081
	v_add_u32_e32 v242, 2, v240                                // 00000000DA3C: 69E5E082
	v_add_u32_e32 v243, 3, v240                                // 00000000DA40: 69E7E083
	v_cmp_le_u32_e64 s[40:41], v240, v64                       // 00000000DA44: D0CB0028 000281F0
	v_add_u32_e32 v240, 64, v240                               // 00000000DA4C: 69E1E0C0
	s_nop 0                                                    // 00000000DA50: BF800000
	v_cndmask_b32_e64 v112, v66, v112, s[40:41]                // 00000000DA54: D1000070 00A2E142
	v_cmp_le_u32_e64 s[40:41], v241, v64                       // 00000000DA5C: D0CB0028 000281F1
	v_add_u32_e32 v241, 64, v241                               // 00000000DA64: 69E3E2C0
	s_nop 0                                                    // 00000000DA68: BF800000
	v_cndmask_b32_e64 v113, v66, v113, s[40:41]                // 00000000DA6C: D1000071 00A2E342
	v_cmp_le_u32_e64 s[40:41], v242, v64                       // 00000000DA74: D0CB0028 000281F2
	v_add_u32_e32 v242, 64, v242                               // 00000000DA7C: 69E5E4C0
	s_nop 0                                                    // 00000000DA80: BF800000
	v_cndmask_b32_e64 v114, v66, v114, s[40:41]                // 00000000DA84: D1000072 00A2E542
	v_cmp_le_u32_e64 s[40:41], v243, v64                       // 00000000DA8C: D0CB0028 000281F3
	v_add_u32_e32 v243, 64, v243                               // 00000000DA94: 69E7E6C0
	s_nop 0                                                    // 00000000DA98: BF800000
	v_cndmask_b32_e64 v115, v66, v115, s[40:41]                // 00000000DA9C: D1000073 00A2E742
	v_cmp_le_u32_e64 s[40:41], v240, v64                       // 00000000DAA4: D0CB0028 000281F0
	v_add_u32_e32 v240, 64, v240                               // 00000000DAAC: 69E1E0C0
	s_nop 0                                                    // 00000000DAB0: BF800000
	v_cndmask_b32_e64 v116, v66, v116, s[40:41]                // 00000000DAB4: D1000074 00A2E942
	v_cmp_le_u32_e64 s[40:41], v241, v64                       // 00000000DABC: D0CB0028 000281F1
	v_add_u32_e32 v241, 64, v241                               // 00000000DAC4: 69E3E2C0
	s_nop 0                                                    // 00000000DAC8: BF800000
	v_cndmask_b32_e64 v117, v66, v117, s[40:41]                // 00000000DACC: D1000075 00A2EB42
	v_cmp_le_u32_e64 s[40:41], v242, v64                       // 00000000DAD4: D0CB0028 000281F2
	v_add_u32_e32 v242, 64, v242                               // 00000000DADC: 69E5E4C0
	s_nop 0                                                    // 00000000DAE0: BF800000
	v_cndmask_b32_e64 v118, v66, v118, s[40:41]                // 00000000DAE4: D1000076 00A2ED42
	v_cmp_le_u32_e64 s[40:41], v243, v64                       // 00000000DAEC: D0CB0028 000281F3
	v_add_u32_e32 v243, 64, v243                               // 00000000DAF4: 69E7E6C0
	s_nop 0                                                    // 00000000DAF8: BF800000
	v_cndmask_b32_e64 v119, v66, v119, s[40:41]                // 00000000DAFC: D1000077 00A2EF42
	v_cmp_le_u32_e64 s[40:41], v240, v64                       // 00000000DB04: D0CB0028 000281F0
	v_add_u32_e32 v240, 64, v240                               // 00000000DB0C: 69E1E0C0
	s_nop 0                                                    // 00000000DB10: BF800000
	v_cndmask_b32_e64 v120, v66, v120, s[40:41]                // 00000000DB14: D1000078 00A2F142
	v_cmp_le_u32_e64 s[40:41], v241, v64                       // 00000000DB1C: D0CB0028 000281F1
	v_add_u32_e32 v241, 64, v241                               // 00000000DB24: 69E3E2C0
	s_nop 0                                                    // 00000000DB28: BF800000
	v_cndmask_b32_e64 v121, v66, v121, s[40:41]                // 00000000DB2C: D1000079 00A2F342
	v_cmp_le_u32_e64 s[40:41], v242, v64                       // 00000000DB34: D0CB0028 000281F2
	v_add_u32_e32 v242, 64, v242                               // 00000000DB3C: 69E5E4C0
	s_nop 0                                                    // 00000000DB40: BF800000
	v_cndmask_b32_e64 v122, v66, v122, s[40:41]                // 00000000DB44: D100007A 00A2F542
	v_cmp_le_u32_e64 s[40:41], v243, v64                       // 00000000DB4C: D0CB0028 000281F3
	v_add_u32_e32 v243, 64, v243                               // 00000000DB54: 69E7E6C0
	s_nop 0                                                    // 00000000DB58: BF800000
	v_cndmask_b32_e64 v123, v66, v123, s[40:41]                // 00000000DB5C: D100007B 00A2F742
	v_cmp_le_u32_e64 s[40:41], v240, v64                       // 00000000DB64: D0CB0028 000281F0
	v_add_u32_e32 v240, 64, v240                               // 00000000DB6C: 69E1E0C0
	s_nop 0                                                    // 00000000DB70: BF800000
	v_cndmask_b32_e64 v124, v66, v124, s[40:41]                // 00000000DB74: D100007C 00A2F942
	v_cmp_le_u32_e64 s[40:41], v241, v64                       // 00000000DB7C: D0CB0028 000281F1
	v_add_u32_e32 v241, 64, v241                               // 00000000DB84: 69E3E2C0
	s_nop 0                                                    // 00000000DB88: BF800000
	v_cndmask_b32_e64 v125, v66, v125, s[40:41]                // 00000000DB8C: D100007D 00A2FB42
	v_cmp_le_u32_e64 s[40:41], v242, v64                       // 00000000DB94: D0CB0028 000281F2
	v_add_u32_e32 v242, 64, v242                               // 00000000DB9C: 69E5E4C0
	s_nop 0                                                    // 00000000DBA0: BF800000
	v_cndmask_b32_e64 v126, v66, v126, s[40:41]                // 00000000DBA4: D100007E 00A2FD42
	v_cmp_le_u32_e64 s[40:41], v243, v64                       // 00000000DBAC: D0CB0028 000281F3
	v_add_u32_e32 v243, 64, v243                               // 00000000DBB4: 69E7E6C0
	s_nop 0                                                    // 00000000DBB8: BF800000
	v_cndmask_b32_e64 v127, v66, v127, s[40:41]                // 00000000DBBC: D100007F 00A2FF42

000000000000dbc4 <label_2E71>:
	s_and_b32 s60, s72, 0xff                                   // 00000000DBC4: 863CFF48 000000FF
	v_mov_b32_e32 v65, s60                                     // 00000000DBCC: 7E82023C
	v_lshrrev_b32_e32 v240, 4, v0                              // 00000000DBD0: 21E00084
	v_mul_i32_i24_e32 v240, 4, v240                            // 00000000DBD4: 0DE1E084
	s_mul_i32 s60, s7, 16                                      // 00000000DBD8: 923C9007
	v_add_u32_e32 v240, s60, v240                              // 00000000DBDC: 69E1E03C
	v_add_u32_e32 v241, 1, v240                                // 00000000DBE0: 69E3E081
	v_add_u32_e32 v242, 2, v240                                // 00000000DBE4: 69E5E082
	v_add_u32_e32 v243, 3, v240                                // 00000000DBE8: 69E7E083
	v_mov_b32_e32 v64, 0xff800000                              // 00000000DBEC: 7E8002FF FF800000
	v_cmp_lt_u32_e64 s[40:41], v240, v65                       // 00000000DBF4: D0C90028 000283F0
	v_add_u32_e32 v240, 64, v240                               // 00000000DBFC: 69E1E0C0
	s_nop 0                                                    // 00000000DC00: BF800000
	v_cndmask_b32_e64 v112, v64, v112, s[40:41]                // 00000000DC04: D1000070 00A2E140
	v_cmp_lt_u32_e64 s[40:41], v241, v65                       // 00000000DC0C: D0C90028 000283F1
	v_add_u32_e32 v241, 64, v241                               // 00000000DC14: 69E3E2C0
	s_nop 0                                                    // 00000000DC18: BF800000
	v_cndmask_b32_e64 v113, v64, v113, s[40:41]                // 00000000DC1C: D1000071 00A2E340
	v_cmp_lt_u32_e64 s[40:41], v242, v65                       // 00000000DC24: D0C90028 000283F2
	v_add_u32_e32 v242, 64, v242                               // 00000000DC2C: 69E5E4C0
	s_nop 0                                                    // 00000000DC30: BF800000
	v_cndmask_b32_e64 v114, v64, v114, s[40:41]                // 00000000DC34: D1000072 00A2E540
	v_cmp_lt_u32_e64 s[40:41], v243, v65                       // 00000000DC3C: D0C90028 000283F3
	v_add_u32_e32 v243, 64, v243                               // 00000000DC44: 69E7E6C0
	s_nop 0                                                    // 00000000DC48: BF800000
	v_cndmask_b32_e64 v115, v64, v115, s[40:41]                // 00000000DC4C: D1000073 00A2E740
	v_cmp_lt_u32_e64 s[40:41], v240, v65                       // 00000000DC54: D0C90028 000283F0
	v_add_u32_e32 v240, 64, v240                               // 00000000DC5C: 69E1E0C0
	s_nop 0                                                    // 00000000DC60: BF800000
	v_cndmask_b32_e64 v116, v64, v116, s[40:41]                // 00000000DC64: D1000074 00A2E940
	v_cmp_lt_u32_e64 s[40:41], v241, v65                       // 00000000DC6C: D0C90028 000283F1
	v_add_u32_e32 v241, 64, v241                               // 00000000DC74: 69E3E2C0
	s_nop 0                                                    // 00000000DC78: BF800000
	v_cndmask_b32_e64 v117, v64, v117, s[40:41]                // 00000000DC7C: D1000075 00A2EB40
	v_cmp_lt_u32_e64 s[40:41], v242, v65                       // 00000000DC84: D0C90028 000283F2
	v_add_u32_e32 v242, 64, v242                               // 00000000DC8C: 69E5E4C0
	s_nop 0                                                    // 00000000DC90: BF800000
	v_cndmask_b32_e64 v118, v64, v118, s[40:41]                // 00000000DC94: D1000076 00A2ED40
	v_cmp_lt_u32_e64 s[40:41], v243, v65                       // 00000000DC9C: D0C90028 000283F3
	v_add_u32_e32 v243, 64, v243                               // 00000000DCA4: 69E7E6C0
	s_nop 0                                                    // 00000000DCA8: BF800000
	v_cndmask_b32_e64 v119, v64, v119, s[40:41]                // 00000000DCAC: D1000077 00A2EF40
	v_cmp_lt_u32_e64 s[40:41], v240, v65                       // 00000000DCB4: D0C90028 000283F0
	v_add_u32_e32 v240, 64, v240                               // 00000000DCBC: 69E1E0C0
	s_nop 0                                                    // 00000000DCC0: BF800000
	v_cndmask_b32_e64 v120, v64, v120, s[40:41]                // 00000000DCC4: D1000078 00A2F140
	v_cmp_lt_u32_e64 s[40:41], v241, v65                       // 00000000DCCC: D0C90028 000283F1
	v_add_u32_e32 v241, 64, v241                               // 00000000DCD4: 69E3E2C0
	s_nop 0                                                    // 00000000DCD8: BF800000
	v_cndmask_b32_e64 v121, v64, v121, s[40:41]                // 00000000DCDC: D1000079 00A2F340
	v_cmp_lt_u32_e64 s[40:41], v242, v65                       // 00000000DCE4: D0C90028 000283F2
	v_add_u32_e32 v242, 64, v242                               // 00000000DCEC: 69E5E4C0
	s_nop 0                                                    // 00000000DCF0: BF800000
	v_cndmask_b32_e64 v122, v64, v122, s[40:41]                // 00000000DCF4: D100007A 00A2F540
	v_cmp_lt_u32_e64 s[40:41], v243, v65                       // 00000000DCFC: D0C90028 000283F3
	v_add_u32_e32 v243, 64, v243                               // 00000000DD04: 69E7E6C0
	s_nop 0                                                    // 00000000DD08: BF800000
	v_cndmask_b32_e64 v123, v64, v123, s[40:41]                // 00000000DD0C: D100007B 00A2F740
	v_cmp_lt_u32_e64 s[40:41], v240, v65                       // 00000000DD14: D0C90028 000283F0
	v_add_u32_e32 v240, 64, v240                               // 00000000DD1C: 69E1E0C0
	s_nop 0                                                    // 00000000DD20: BF800000
	v_cndmask_b32_e64 v124, v64, v124, s[40:41]                // 00000000DD24: D100007C 00A2F940
	v_cmp_lt_u32_e64 s[40:41], v241, v65                       // 00000000DD2C: D0C90028 000283F1
	v_add_u32_e32 v241, 64, v241                               // 00000000DD34: 69E3E2C0
	s_nop 0                                                    // 00000000DD38: BF800000
	v_cndmask_b32_e64 v125, v64, v125, s[40:41]                // 00000000DD3C: D100007D 00A2FB40
	v_cmp_lt_u32_e64 s[40:41], v242, v65                       // 00000000DD44: D0C90028 000283F2
	v_add_u32_e32 v242, 64, v242                               // 00000000DD4C: 69E5E4C0
	s_nop 0                                                    // 00000000DD50: BF800000
	v_cndmask_b32_e64 v126, v64, v126, s[40:41]                // 00000000DD54: D100007E 00A2FD40
	v_cmp_lt_u32_e64 s[40:41], v243, v65                       // 00000000DD5C: D0C90028 000283F3
	v_add_u32_e32 v243, 64, v243                               // 00000000DD64: 69E7E6C0
	s_nop 0                                                    // 00000000DD68: BF800000
	v_cndmask_b32_e64 v127, v64, v127, s[40:41]                // 00000000DD6C: D100007F 00A2FF40
	v_mov_b32_e32 v48, v112                                    // 00000000DD74: 7E600370
	v_max3_f32 v48, v112, v113, v48                            // 00000000DD78: D1D30030 04C2E370
	v_max3_f32 v48, v114, v115, v48                            // 00000000DD80: D1D30030 04C2E772
	v_max3_f32 v48, v116, v117, v48                            // 00000000DD88: D1D30030 04C2EB74
	v_max3_f32 v48, v118, v119, v48                            // 00000000DD90: D1D30030 04C2EF76
	v_max3_f32 v48, v120, v121, v48                            // 00000000DD98: D1D30030 04C2F378
	v_max3_f32 v48, v122, v123, v48                            // 00000000DDA0: D1D30030 04C2F77A
	v_max3_f32 v48, v124, v125, v48                            // 00000000DDA8: D1D30030 04C2FB7C
	v_max3_f32 v48, v126, v127, v48                            // 00000000DDB0: D1D30030 04C2FF7E
	ds_write_b32 v8, v48 offset:16896                          // 00000000DDB8: D81A4200 00003008
	v_mul_u32_u24_dpp v64, v17, v54 row_newbcast:1 row_mask:0xf bank_mask:0xf// 00000000DDC0: 10806CFA FF015111
	v_mul_u32_u24_dpp v65, v17, v54 row_newbcast:5 row_mask:0xf bank_mask:0xf// 00000000DDC8: 10826CFA FF015511
	v_mul_u32_u24_dpp v66, v17, v54 row_newbcast:9 row_mask:0xf bank_mask:0xf// 00000000DDD0: 10846CFA FF015911
	v_mul_u32_u24_dpp v67, v17, v54 row_newbcast:13 row_mask:0xf bank_mask:0xf// 00000000DDD8: 10866CFA FF015D11
	v_add_u32_e32 v34, v64, v6                                 // 00000000DDE0: 68440D40
	v_add_u32_e32 v35, v65, v6                                 // 00000000DDE4: 68460D41
	v_add_u32_e32 v36, v66, v6                                 // 00000000DDE8: 68480D42
	v_add_u32_e32 v37, v67, v6                                 // 00000000DDEC: 684A0D43
	v_mul_f32_e32 v208, v49, v208                              // 00000000DDF0: 0BA1A131
	v_mul_f32_e32 v209, v49, v209                              // 00000000DDF4: 0BA3A331
	v_mul_f32_e32 v210, v49, v210                              // 00000000DDF8: 0BA5A531
	v_mul_f32_e32 v211, v49, v211                              // 00000000DDFC: 0BA7A731
	v_mul_f32_e32 v212, v49, v212                              // 00000000DE00: 0BA9A931
	v_mul_f32_e32 v213, v49, v213                              // 00000000DE04: 0BABAB31
	v_mul_f32_e32 v214, v49, v214                              // 00000000DE08: 0BADAD31
	v_mul_f32_e32 v215, v49, v215                              // 00000000DE0C: 0BAFAF31
	s_waitcnt lgkmcnt(0)                                       // 00000000DE10: BF8CC07F
	s_barrier                                                  // 00000000DE14: BF8A0000
	ds_read_b32 v64, v7 offset:16896                           // 00000000DE18: D86C4200 40000007
	ds_read_b32 v65, v7 offset:16960                           // 00000000DE20: D86C4240 41000007
	ds_read_b32 v66, v7 offset:17024                           // 00000000DE28: D86C4280 42000007
	ds_read_b32 v67, v7 offset:17088                           // 00000000DE30: D86C42C0 43000007
	ds_read_b32 v68, v7 offset:17152                           // 00000000DE38: D86C4300 44000007
	ds_read_b32 v69, v7 offset:17216                           // 00000000DE40: D86C4340 45000007
	ds_read_b32 v70, v7 offset:17280                           // 00000000DE48: D86C4380 46000007
	ds_read_b32 v71, v7 offset:17344                           // 00000000DE50: D86C43C0 47000007
	ds_read_b32 v72, v7 offset:17408                           // 00000000DE58: D86C4400 48000007
	ds_read_b32 v73, v7 offset:17472                           // 00000000DE60: D86C4440 49000007
	ds_read_b32 v74, v7 offset:17536                           // 00000000DE68: D86C4480 4A000007
	ds_read_b32 v75, v7 offset:17600                           // 00000000DE70: D86C44C0 4B000007
	ds_read_b32 v76, v7 offset:17664                           // 00000000DE78: D86C4500 4C000007
	ds_read_b32 v77, v7 offset:17728                           // 00000000DE80: D86C4540 4D000007
	ds_read_b32 v78, v7 offset:17792                           // 00000000DE88: D86C4580 4E000007
	ds_read_b32 v79, v7 offset:17856                           // 00000000DE90: D86C45C0 4F000007
	v_cvt_f32_i32_e32 v176, v176                               // 00000000DE98: 7F600BB0
	v_cvt_f32_i32_e32 v177, v177                               // 00000000DE9C: 7F620BB1
	v_cvt_f32_i32_e32 v178, v178                               // 00000000DEA0: 7F640BB2
	v_cvt_f32_i32_e32 v179, v179                               // 00000000DEA4: 7F660BB3
	v_cvt_f32_i32_e32 v180, v180                               // 00000000DEA8: 7F680BB4
	v_cvt_f32_i32_e32 v181, v181                               // 00000000DEAC: 7F6A0BB5
	v_cvt_f32_i32_e32 v182, v182                               // 00000000DEB0: 7F6C0BB6
	v_cvt_f32_i32_e32 v183, v183                               // 00000000DEB4: 7F6E0BB7
	v_mul_f32_e32 v176, v44, v176                              // 00000000DEB8: 0B61612C
	v_mul_f32_e32 v177, v44, v177                              // 00000000DEBC: 0B63632C
	v_mul_f32_e32 v178, v44, v178                              // 00000000DEC0: 0B65652C
	v_mul_f32_e32 v179, v44, v179                              // 00000000DEC4: 0B67672C
	v_mul_f32_e32 v180, v44, v180                              // 00000000DEC8: 0B69692C
	v_mul_f32_e32 v181, v44, v181                              // 00000000DECC: 0B6B6B2C
	v_mul_f32_e32 v182, v44, v182                              // 00000000DED0: 0B6D6D2C
	v_mul_f32_e32 v183, v44, v183                              // 00000000DED4: 0B6F6F2C
	s_waitcnt lgkmcnt(0)                                       // 00000000DED8: BF8CC07F
	v_max3_f32 v48, v64, v65, v48                              // 00000000DEDC: D1D30030 04C28340
	v_max3_f32 v48, v66, v67, v48                              // 00000000DEE4: D1D30030 04C28742
	v_max3_f32 v48, v68, v69, v48                              // 00000000DEEC: D1D30030 04C28B44
	v_max3_f32 v48, v70, v71, v48                              // 00000000DEF4: D1D30030 04C28F46
	v_max3_f32 v48, v72, v73, v48                              // 00000000DEFC: D1D30030 04C29348
	v_max3_f32 v48, v74, v75, v48                              // 00000000DF04: D1D30030 04C2974A
	v_max3_f32 v48, v76, v77, v48                              // 00000000DF0C: D1D30030 04C29B4C
	v_max3_f32 v48, v78, v79, v48                              // 00000000DF14: D1D30030 04C29F4E
	v_mov_b32_e32 v64, 0xff800000                              // 00000000DF1C: 7E8002FF FF800000
	v_cmp_eq_u32_e64 s[40:41], v64, v11                        // 00000000DF24: D0CA0028 00021740
	s_nop 1                                                    // 00000000DF2C: BF800001
	v_max_f32_e32 v15, v48, v11                                // 00000000DF30: 161E1730
	v_mul_f32_e32 v53, s64, v15                                // 00000000DF34: 0A6A1E40
	v_fma_f32 v112, v112, s64, -v53                            // 00000000DF38: D1CB0070 84D48170
	v_fma_f32 v113, v113, s64, -v53                            // 00000000DF40: D1CB0071 84D48171
	v_fma_f32 v114, v114, s64, -v53                            // 00000000DF48: D1CB0072 84D48172
	v_fma_f32 v115, v115, s64, -v53                            // 00000000DF50: D1CB0073 84D48173
	v_fma_f32 v116, v116, s64, -v53                            // 00000000DF58: D1CB0074 84D48174
	v_fma_f32 v117, v117, s64, -v53                            // 00000000DF60: D1CB0075 84D48175
	v_fma_f32 v118, v118, s64, -v53                            // 00000000DF68: D1CB0076 84D48176
	v_fma_f32 v119, v119, s64, -v53                            // 00000000DF70: D1CB0077 84D48177
	v_fma_f32 v120, v120, s64, -v53                            // 00000000DF78: D1CB0078 84D48178
	v_fma_f32 v121, v121, s64, -v53                            // 00000000DF80: D1CB0079 84D48179
	v_fma_f32 v122, v122, s64, -v53                            // 00000000DF88: D1CB007A 84D4817A
	v_fma_f32 v123, v123, s64, -v53                            // 00000000DF90: D1CB007B 84D4817B
	v_fma_f32 v124, v124, s64, -v53                            // 00000000DF98: D1CB007C 84D4817C
	v_fma_f32 v125, v125, s64, -v53                            // 00000000DFA0: D1CB007D 84D4817D
	v_fma_f32 v126, v126, s64, -v53                            // 00000000DFA8: D1CB007E 84D4817E
	v_fma_f32 v127, v127, s64, -v53                            // 00000000DFB0: D1CB007F 84D4817F
	v_exp_f32_e32 v112, v112                                   // 00000000DFB8: 7EE04170
	v_exp_f32_e32 v113, v113                                   // 00000000DFBC: 7EE24171
	v_exp_f32_e32 v114, v114                                   // 00000000DFC0: 7EE44172
	v_exp_f32_e32 v115, v115                                   // 00000000DFC4: 7EE64173
	v_exp_f32_e32 v116, v116                                   // 00000000DFC8: 7EE84174
	v_exp_f32_e32 v117, v117                                   // 00000000DFCC: 7EEA4175
	v_exp_f32_e32 v118, v118                                   // 00000000DFD0: 7EEC4176
	v_exp_f32_e32 v119, v119                                   // 00000000DFD4: 7EEE4177
	v_exp_f32_e32 v120, v120                                   // 00000000DFD8: 7EF04178
	v_exp_f32_e32 v121, v121                                   // 00000000DFDC: 7EF24179
	v_exp_f32_e32 v122, v122                                   // 00000000DFE0: 7EF4417A
	v_exp_f32_e32 v123, v123                                   // 00000000DFE4: 7EF6417B
	v_exp_f32_e32 v124, v124                                   // 00000000DFE8: 7EF8417C
	v_exp_f32_e32 v125, v125                                   // 00000000DFEC: 7EFA417D
	v_exp_f32_e32 v126, v126                                   // 00000000DFF0: 7EFC417E
	v_exp_f32_e32 v127, v127                                   // 00000000DFF4: 7EFE417F
	v_mul_f32_dpp v240, v252, v112 quad_perm:[0,0,0,0] row_mask:0xf bank_mask:0xf// 00000000DFF8: 0BE0E0FA FF0000FC
	v_mul_f32_dpp v241, v252, v113 quad_perm:[1,1,1,1] row_mask:0xf bank_mask:0xf// 00000000E000: 0BE2E2FA FF0055FC
	v_mul_f32_dpp v242, v252, v114 quad_perm:[2,2,2,2] row_mask:0xf bank_mask:0xf// 00000000E008: 0BE4E4FA FF00AAFC
	v_mul_f32_dpp v243, v252, v115 quad_perm:[3,3,3,3] row_mask:0xf bank_mask:0xf// 00000000E010: 0BE6E6FA FF00FFFC
	v_mul_f32_dpp v244, v253, v116 quad_perm:[0,0,0,0] row_mask:0xf bank_mask:0xf// 00000000E018: 0BE8E8FA FF0000FD
	v_mul_f32_dpp v245, v253, v117 quad_perm:[1,1,1,1] row_mask:0xf bank_mask:0xf// 00000000E020: 0BEAEAFA FF0055FD
	v_mul_f32_dpp v246, v253, v118 quad_perm:[2,2,2,2] row_mask:0xf bank_mask:0xf// 00000000E028: 0BECECFA FF00AAFD
	v_mul_f32_dpp v247, v253, v119 quad_perm:[3,3,3,3] row_mask:0xf bank_mask:0xf// 00000000E030: 0BEEEEFA FF00FFFD
	v_mul_f32_dpp v248, v254, v120 quad_perm:[0,0,0,0] row_mask:0xf bank_mask:0xf// 00000000E038: 0BF0F0FA FF0000FE
	v_mul_f32_dpp v249, v254, v121 quad_perm:[1,1,1,1] row_mask:0xf bank_mask:0xf// 00000000E040: 0BF2F2FA FF0055FE
	v_mul_f32_dpp v250, v254, v122 quad_perm:[2,2,2,2] row_mask:0xf bank_mask:0xf// 00000000E048: 0BF4F4FA FF00AAFE
	v_mul_f32_dpp v251, v254, v123 quad_perm:[3,3,3,3] row_mask:0xf bank_mask:0xf// 00000000E050: 0BF6F6FA FF00FFFE
	v_mul_f32_dpp v252, v255, v124 quad_perm:[0,0,0,0] row_mask:0xf bank_mask:0xf// 00000000E058: 0BF8F8FA FF0000FF
	v_mul_f32_dpp v253, v255, v125 quad_perm:[1,1,1,1] row_mask:0xf bank_mask:0xf// 00000000E060: 0BFAFAFA FF0055FF
	v_mul_f32_dpp v254, v255, v126 quad_perm:[2,2,2,2] row_mask:0xf bank_mask:0xf// 00000000E068: 0BFCFCFA FF00AAFF
	v_mul_f32_dpp v255, v255, v127 quad_perm:[3,3,3,3] row_mask:0xf bank_mask:0xf// 00000000E070: 0BFEFEFA FF00FFFF
	v_mov_b32_e32 v48, 0x358637bd                              // 00000000E078: 7E6002FF 358637BD
	v_max3_f32 v48, |v240|, |v241|, v48                        // 00000000E080: D1D30330 04C3E3F0
	v_max3_f32 v48, |v242|, |v243|, v48                        // 00000000E088: D1D30330 04C3E7F2
	v_max3_f32 v48, |v244|, |v245|, v48                        // 00000000E090: D1D30330 04C3EBF4
	v_max3_f32 v48, |v246|, |v247|, v48                        // 00000000E098: D1D30330 04C3EFF6
	v_max3_f32 v48, |v248|, |v249|, v48                        // 00000000E0A0: D1D30330 04C3F3F8
	v_max3_f32 v48, |v250|, |v251|, v48                        // 00000000E0A8: D1D30330 04C3F7FA
	v_max3_f32 v48, |v252|, |v253|, v48                        // 00000000E0B0: D1D30330 04C3FBFC
	v_max3_f32 v48, |v254|, |v255|, v48                        // 00000000E0B8: D1D30330 04C3FFFE
	ds_write_b32 v8, v48 offset:20992                          // 00000000E0C0: D81A5200 00003008
	v_sub_f32_e32 v49, v11, v15                                // 00000000E0C8: 04621F0B
	v_cndmask_b32_e64 v49, v49, 0, s[40:41]                    // 00000000E0CC: D1000031 00A10131
	v_mov_b32_e32 v11, v15                                     // 00000000E0D4: 7E16030F
	v_mul_f32_e32 v49, s64, v49                                // 00000000E0D8: 0A626240
	v_exp_f32_e32 v49, v49                                     // 00000000E0DC: 7E624131
	s_waitcnt lgkmcnt(0)                                       // 00000000E0E0: BF8CC07F
	s_barrier                                                  // 00000000E0E4: BF8A0000
	ds_read_b32 v64, v7 offset:20992                           // 00000000E0E8: D86C5200 40000007
	ds_read_b32 v65, v7 offset:21056                           // 00000000E0F0: D86C5240 41000007
	ds_read_b32 v66, v7 offset:21120                           // 00000000E0F8: D86C5280 42000007
	ds_read_b32 v67, v7 offset:21184                           // 00000000E100: D86C52C0 43000007
	ds_read_b32 v68, v7 offset:21248                           // 00000000E108: D86C5300 44000007
	ds_read_b32 v69, v7 offset:21312                           // 00000000E110: D86C5340 45000007
	ds_read_b32 v70, v7 offset:21376                           // 00000000E118: D86C5380 46000007
	ds_read_b32 v71, v7 offset:21440                           // 00000000E120: D86C53C0 47000007
	ds_read_b32 v72, v7 offset:21504                           // 00000000E128: D86C5400 48000007
	ds_read_b32 v73, v7 offset:21568                           // 00000000E130: D86C5440 49000007
	ds_read_b32 v74, v7 offset:21632                           // 00000000E138: D86C5480 4A000007
	ds_read_b32 v75, v7 offset:21696                           // 00000000E140: D86C54C0 4B000007
	ds_read_b32 v76, v7 offset:21760                           // 00000000E148: D86C5500 4C000007
	ds_read_b32 v77, v7 offset:21824                           // 00000000E150: D86C5540 4D000007
	ds_read_b32 v78, v7 offset:21888                           // 00000000E158: D86C5580 4E000007
	ds_read_b32 v79, v7 offset:21952                           // 00000000E160: D86C55C0 4F000007
	v_mul_f32_e32 v38, v49, v38                                // 00000000E168: 0A4C4D31
	v_mov_b32_e32 v15, v112                                    // 00000000E16C: 7E1E0370
	v_add_f32_e32 v15, v113, v15                               // 00000000E170: 021E1F71
	v_add_f32_e32 v15, v114, v15                               // 00000000E174: 021E1F72
	v_add_f32_e32 v15, v115, v15                               // 00000000E178: 021E1F73
	v_add_f32_e32 v15, v116, v15                               // 00000000E17C: 021E1F74
	v_add_f32_e32 v15, v117, v15                               // 00000000E180: 021E1F75
	v_add_f32_e32 v15, v118, v15                               // 00000000E184: 021E1F76
	v_add_f32_e32 v15, v119, v15                               // 00000000E188: 021E1F77
	v_add_f32_e32 v15, v120, v15                               // 00000000E18C: 021E1F78
	v_add_f32_e32 v15, v121, v15                               // 00000000E190: 021E1F79
	v_add_f32_e32 v15, v122, v15                               // 00000000E194: 021E1F7A
	v_add_f32_e32 v15, v123, v15                               // 00000000E198: 021E1F7B
	v_add_f32_e32 v15, v124, v15                               // 00000000E19C: 021E1F7C
	v_add_f32_e32 v15, v125, v15                               // 00000000E1A0: 021E1F7D
	v_add_f32_e32 v15, v126, v15                               // 00000000E1A4: 021E1F7E
	v_add_f32_e32 v15, v127, v15                               // 00000000E1A8: 021E1F7F
	v_add_f32_e32 v38, v15, v38                                // 00000000E1AC: 024C4D0F
	s_waitcnt lgkmcnt(0)                                       // 00000000E1B0: BF8CC07F
	v_max3_f32 v48, |v64|, |v65|, v48                          // 00000000E1B4: D1D30330 04C28340
	v_max3_f32 v48, |v66|, |v67|, v48                          // 00000000E1BC: D1D30330 04C28742
	v_max3_f32 v48, |v68|, |v69|, v48                          // 00000000E1C4: D1D30330 04C28B44
	v_max3_f32 v48, |v70|, |v71|, v48                          // 00000000E1CC: D1D30330 04C28F46
	v_max3_f32 v48, |v72|, |v73|, v48                          // 00000000E1D4: D1D30330 04C29348
	v_max3_f32 v48, |v74|, |v75|, v48                          // 00000000E1DC: D1D30330 04C2974A
	v_max3_f32 v48, |v76|, |v77|, v48                          // 00000000E1E4: D1D30330 04C29B4C
	v_max3_f32 v48, |v78|, |v79|, v48                          // 00000000E1EC: D1D30330 04C29F4E
	s_nop 2                                                    // 00000000E1F4: BF800002
	v_rcp_f32_e32 v48, v48                                     // 00000000E1F8: 7E604530
	s_nop 1                                                    // 00000000E1FC: BF800001
	v_mul_f32_e32 v48, 0x42fe0000, v48                         // 00000000E200: 0A6060FF 42FE0000
	v_mul_f32_e32 v112, v48, v240                              // 00000000E208: 0AE1E130
	v_mul_f32_e32 v113, v48, v241                              // 00000000E20C: 0AE3E330
	v_mul_f32_e32 v114, v48, v242                              // 00000000E210: 0AE5E530
	v_mul_f32_e32 v115, v48, v243                              // 00000000E214: 0AE7E730
	v_mul_f32_e32 v116, v48, v244                              // 00000000E218: 0AE9E930
	v_mul_f32_e32 v117, v48, v245                              // 00000000E21C: 0AEBEB30
	v_mul_f32_e32 v118, v48, v246                              // 00000000E220: 0AEDED30
	v_mul_f32_e32 v119, v48, v247                              // 00000000E224: 0AEFEF30
	v_mul_f32_e32 v120, v48, v248                              // 00000000E228: 0AF1F130
	v_mul_f32_e32 v121, v48, v249                              // 00000000E22C: 0AF3F330
	v_mul_f32_e32 v122, v48, v250                              // 00000000E230: 0AF5F530
	v_mul_f32_e32 v123, v48, v251                              // 00000000E234: 0AF7F730
	v_mul_f32_e32 v124, v48, v252                              // 00000000E238: 0AF9F930
	v_mul_f32_e32 v125, v48, v253                              // 00000000E23C: 0AFBFB30
	v_mul_f32_e32 v126, v48, v254                              // 00000000E240: 0AFDFD30
	v_mul_f32_e32 v127, v48, v255                              // 00000000E244: 0AFFFF30
	v_cvt_i32_f32_e32 v112, v112                               // 00000000E248: 7EE01170
	v_cvt_i32_f32_e32 v113, v113                               // 00000000E24C: 7EE21171
	v_cvt_i32_f32_e32 v114, v114                               // 00000000E250: 7EE41172
	v_cvt_i32_f32_e32 v115, v115                               // 00000000E254: 7EE61173
	v_cvt_i32_f32_e32 v116, v116                               // 00000000E258: 7EE81174
	v_cvt_i32_f32_e32 v117, v117                               // 00000000E25C: 7EEA1175
	v_cvt_i32_f32_e32 v118, v118                               // 00000000E260: 7EEC1176
	v_cvt_i32_f32_e32 v119, v119                               // 00000000E264: 7EEE1177
	v_cvt_i32_f32_e32 v120, v120                               // 00000000E268: 7EF01178
	v_cvt_i32_f32_e32 v121, v121                               // 00000000E26C: 7EF21179
	v_cvt_i32_f32_e32 v122, v122                               // 00000000E270: 7EF4117A
	v_cvt_i32_f32_e32 v123, v123                               // 00000000E274: 7EF6117B
	v_cvt_i32_f32_e32 v124, v124                               // 00000000E278: 7EF8117C
	v_cvt_i32_f32_e32 v125, v125                               // 00000000E27C: 7EFA117D
	v_cvt_i32_f32_e32 v126, v126                               // 00000000E280: 7EFC117E
	v_cvt_i32_f32_e32 v127, v127                               // 00000000E284: 7EFE117F
	v_perm_b32 v112, v113, v112, s53                           // 00000000E288: D1ED0070 00D6E171
	v_perm_b32 v112, v114, v112, s54                           // 00000000E290: D1ED0070 00DAE172
	v_perm_b32 v112, v115, v112, s55                           // 00000000E298: D1ED0070 00DEE173
	v_perm_b32 v113, v117, v116, s53                           // 00000000E2A0: D1ED0071 00D6E975
	v_perm_b32 v113, v118, v113, s54                           // 00000000E2A8: D1ED0071 00DAE376
	v_perm_b32 v113, v119, v113, s55                           // 00000000E2B0: D1ED0071 00DEE377
	v_perm_b32 v114, v121, v120, s53                           // 00000000E2B8: D1ED0072 00D6F179
	v_perm_b32 v114, v122, v114, s54                           // 00000000E2C0: D1ED0072 00DAE57A
	v_perm_b32 v114, v123, v114, s55                           // 00000000E2C8: D1ED0072 00DEE57B
	v_perm_b32 v115, v125, v124, s53                           // 00000000E2D0: D1ED0073 00D6F97D
	v_perm_b32 v115, v126, v115, s54                           // 00000000E2D8: D1ED0073 00DAE77E
	v_perm_b32 v115, v127, v115, s55                           // 00000000E2E0: D1ED0073 00DEE77F
	ds_write_b32 v10, v112 offset:25088                        // 00000000E2E8: D81A6200 0000700A
	ds_write_b32 v10, v113 offset:26112                        // 00000000E2F0: D81A6600 0000710A
	ds_write_b32 v10, v114 offset:27136                        // 00000000E2F8: D81A6A00 0000720A
	ds_write_b32 v10, v115 offset:28160                        // 00000000E300: D81A6E00 0000730A
	v_add_f32_e32 v208, v208, v176                             // 00000000E308: 03A161D0
	v_add_f32_e32 v209, v209, v177                             // 00000000E30C: 03A363D1
	v_add_f32_e32 v210, v210, v178                             // 00000000E310: 03A565D2
	v_add_f32_e32 v211, v211, v179                             // 00000000E314: 03A767D3
	v_add_f32_e32 v212, v212, v180                             // 00000000E318: 03A969D4
	v_add_f32_e32 v213, v213, v181                             // 00000000E31C: 03AB6BD5
	v_add_f32_e32 v214, v214, v182                             // 00000000E320: 03AD6DD6
	v_add_f32_e32 v215, v215, v183                             // 00000000E324: 03AF6FD7
	v_rcp_f32_e32 v44, v48                                     // 00000000E328: 7E584530
	s_waitcnt lgkmcnt(0)                                       // 00000000E32C: BF8CC07F
	s_barrier                                                  // 00000000E330: BF8A0000
	ds_read_b64 v[112:113], v9 offset:25088                    // 00000000E334: D8EC6200 70000009
	ds_read_b64 v[114:115], v9 offset:25216                    // 00000000E33C: D8EC6280 72000009
	ds_read_b64 v[116:117], v9 offset:26112                    // 00000000E344: D8EC6600 74000009
	ds_read_b64 v[118:119], v9 offset:26240                    // 00000000E34C: D8EC6680 76000009
	ds_read_b64 v[120:121], v9 offset:27136                    // 00000000E354: D8EC6A00 78000009
	ds_read_b64 v[122:123], v9 offset:27264                    // 00000000E35C: D8EC6A80 7A000009
	ds_read_b64 v[124:125], v9 offset:28160                    // 00000000E364: D8EC6E00 7C000009
	ds_read_b64 v[126:127], v9 offset:28288                    // 00000000E36C: D8EC6E80 7E000009
	v_mov_b32_dpp v64, v42 row_shr:4 row_mask:0xf bank_mask:0xf// 00000000E374: 7E8002FA FF01142A
	v_mov_b32_dpp v65, v42 row_shl:4 row_mask:0xf bank_mask:0xf// 00000000E37C: 7E8202FA FF01042A
	v_cndmask_b32_e64 v248, v42, v64, s[44:45]                 // 00000000E384: D10000F8 00B2812A
	v_cndmask_b32_e64 v249, v65, v42, s[44:45]                 // 00000000E38C: D10000F9 00B25541
	v_mov_b32_dpp v64, v248 row_shr:8 row_mask:0xf bank_mask:0xf// 00000000E394: 7E8002FA FF0118F8
	v_mov_b32_dpp v65, v248 row_shl:8 row_mask:0xf bank_mask:0xf// 00000000E39C: 7E8202FA FF0108F8
	v_mov_b32_dpp v66, v249 row_shr:8 row_mask:0xf bank_mask:0xf// 00000000E3A4: 7E8402FA FF0118F9
	v_mov_b32_dpp v67, v249 row_shl:8 row_mask:0xf bank_mask:0xf// 00000000E3AC: 7E8602FA FF0108F9
	v_mov_b32_e32 v68, v248                                    // 00000000E3B4: 7E8803F8
	v_mov_b32_e32 v69, v249                                    // 00000000E3B8: 7E8A03F9
	v_cndmask_b32_e64 v248, v68, v64, s[42:43]                 // 00000000E3BC: D10000F8 00AA8144
	v_cndmask_b32_e64 v250, v68, v65, s[78:79]                 // 00000000E3C4: D10000FA 013A8344
	v_cndmask_b32_e64 v249, v69, v66, s[42:43]                 // 00000000E3CC: D10000F9 00AA8545
	v_cndmask_b32_e64 v251, v69, v67, s[78:79]                 // 00000000E3D4: D10000FB 013A8745
	v_mov_b32_dpp v64, v57 row_shr:4 row_mask:0xf bank_mask:0xf// 00000000E3DC: 7E8002FA FF011439
	v_mov_b32_dpp v65, v57 row_shl:4 row_mask:0xf bank_mask:0xf// 00000000E3E4: 7E8202FA FF010439
	v_cndmask_b32_e64 v252, v57, v64, s[44:45]                 // 00000000E3EC: D10000FC 00B28139
	v_cndmask_b32_e64 v253, v65, v57, s[44:45]                 // 00000000E3F4: D10000FD 00B27341
	v_mov_b32_dpp v64, v252 row_shr:8 row_mask:0xf bank_mask:0xf// 00000000E3FC: 7E8002FA FF0118FC
	v_mov_b32_dpp v65, v252 row_shl:8 row_mask:0xf bank_mask:0xf// 00000000E404: 7E8202FA FF0108FC
	v_mov_b32_dpp v66, v253 row_shr:8 row_mask:0xf bank_mask:0xf// 00000000E40C: 7E8402FA FF0118FD
	v_mov_b32_dpp v67, v253 row_shl:8 row_mask:0xf bank_mask:0xf// 00000000E414: 7E8602FA FF0108FD
	v_mov_b32_e32 v68, v252                                    // 00000000E41C: 7E8803FC
	v_mov_b32_e32 v69, v253                                    // 00000000E420: 7E8A03FD
	v_cndmask_b32_e64 v252, v68, v64, s[42:43]                 // 00000000E424: D10000FC 00AA8144
	v_cndmask_b32_e64 v254, v68, v65, s[78:79]                 // 00000000E42C: D10000FE 013A8344
	v_cndmask_b32_e64 v253, v69, v66, s[42:43]                 // 00000000E434: D10000FD 00AA8545
	v_cndmask_b32_e64 v255, v69, v67, s[78:79]                 // 00000000E43C: D10000FF 013A8745
	v_cvt_f32_i32_e32 v128, v128                               // 00000000E444: 7F000B80
	v_cvt_f32_i32_e32 v129, v129                               // 00000000E448: 7F020B81
	v_cvt_f32_i32_e32 v130, v130                               // 00000000E44C: 7F040B82
	v_cvt_f32_i32_e32 v131, v131                               // 00000000E450: 7F060B83
	v_cvt_f32_i32_e32 v132, v132                               // 00000000E454: 7F080B84
	v_cvt_f32_i32_e32 v133, v133                               // 00000000E458: 7F0A0B85
	v_cvt_f32_i32_e32 v134, v134                               // 00000000E45C: 7F0C0B86
	v_cvt_f32_i32_e32 v135, v135                               // 00000000E460: 7F0E0B87
	v_cvt_f32_i32_e32 v136, v136                               // 00000000E464: 7F100B88
	v_cvt_f32_i32_e32 v137, v137                               // 00000000E468: 7F120B89
	v_cvt_f32_i32_e32 v138, v138                               // 00000000E46C: 7F140B8A
	v_cvt_f32_i32_e32 v139, v139                               // 00000000E470: 7F160B8B
	v_cvt_f32_i32_e32 v140, v140                               // 00000000E474: 7F180B8C
	v_cvt_f32_i32_e32 v141, v141                               // 00000000E478: 7F1A0B8D
	v_cvt_f32_i32_e32 v142, v142                               // 00000000E47C: 7F1C0B8E
	v_cvt_f32_i32_e32 v143, v143                               // 00000000E480: 7F1E0B8F
	v_mul_f32_e32 v128, v19, v128                              // 00000000E484: 0B010113
	v_mul_f32_e32 v129, v19, v129                              // 00000000E488: 0B030313
	v_mul_f32_e32 v130, v19, v130                              // 00000000E48C: 0B050513
	v_mul_f32_e32 v131, v19, v131                              // 00000000E490: 0B070713
	v_mul_f32_e32 v132, v19, v132                              // 00000000E494: 0B090913
	v_mul_f32_e32 v133, v19, v133                              // 00000000E498: 0B0B0B13
	v_mul_f32_e32 v134, v19, v134                              // 00000000E49C: 0B0D0D13
	v_mul_f32_e32 v135, v19, v135                              // 00000000E4A0: 0B0F0F13
	v_mul_f32_e32 v136, v19, v136                              // 00000000E4A4: 0B111113
	v_mul_f32_e32 v137, v19, v137                              // 00000000E4A8: 0B131313
	v_mul_f32_e32 v138, v19, v138                              // 00000000E4AC: 0B151513
	v_mul_f32_e32 v139, v19, v139                              // 00000000E4B0: 0B171713
	v_mul_f32_e32 v140, v19, v140                              // 00000000E4B4: 0B191913
	v_mul_f32_e32 v141, v19, v141                              // 00000000E4B8: 0B1B1B13
	v_mul_f32_e32 v142, v19, v142                              // 00000000E4BC: 0B1D1D13
	v_mul_f32_e32 v143, v19, v143                              // 00000000E4C0: 0B1F1F13
	v_mul_f32_dpp v128, v248, v128 quad_perm:[0,0,0,0] row_mask:0xf bank_mask:0xf// 00000000E4C4: 0B0100FA FF0000F8
	v_mul_f32_dpp v129, v248, v129 quad_perm:[1,1,1,1] row_mask:0xf bank_mask:0xf// 00000000E4CC: 0B0302FA FF0055F8
	v_mul_f32_dpp v130, v248, v130 quad_perm:[2,2,2,2] row_mask:0xf bank_mask:0xf// 00000000E4D4: 0B0504FA FF00AAF8
	v_mul_f32_dpp v131, v248, v131 quad_perm:[3,3,3,3] row_mask:0xf bank_mask:0xf// 00000000E4DC: 0B0706FA FF00FFF8
	v_mul_f32_dpp v132, v249, v132 quad_perm:[0,0,0,0] row_mask:0xf bank_mask:0xf// 00000000E4E4: 0B0908FA FF0000F9
	v_mul_f32_dpp v133, v249, v133 quad_perm:[1,1,1,1] row_mask:0xf bank_mask:0xf// 00000000E4EC: 0B0B0AFA FF0055F9
	v_mul_f32_dpp v134, v249, v134 quad_perm:[2,2,2,2] row_mask:0xf bank_mask:0xf// 00000000E4F4: 0B0D0CFA FF00AAF9
	v_mul_f32_dpp v135, v249, v135 quad_perm:[3,3,3,3] row_mask:0xf bank_mask:0xf// 00000000E4FC: 0B0F0EFA FF00FFF9
	v_mul_f32_dpp v136, v250, v136 quad_perm:[0,0,0,0] row_mask:0xf bank_mask:0xf// 00000000E504: 0B1110FA FF0000FA
	v_mul_f32_dpp v137, v250, v137 quad_perm:[1,1,1,1] row_mask:0xf bank_mask:0xf// 00000000E50C: 0B1312FA FF0055FA
	v_mul_f32_dpp v138, v250, v138 quad_perm:[2,2,2,2] row_mask:0xf bank_mask:0xf// 00000000E514: 0B1514FA FF00AAFA
	v_mul_f32_dpp v139, v250, v139 quad_perm:[3,3,3,3] row_mask:0xf bank_mask:0xf// 00000000E51C: 0B1716FA FF00FFFA
	v_mul_f32_dpp v140, v251, v140 quad_perm:[0,0,0,0] row_mask:0xf bank_mask:0xf// 00000000E524: 0B1918FA FF0000FB
	v_mul_f32_dpp v141, v251, v141 quad_perm:[1,1,1,1] row_mask:0xf bank_mask:0xf// 00000000E52C: 0B1B1AFA FF0055FB
	v_mul_f32_dpp v142, v251, v142 quad_perm:[2,2,2,2] row_mask:0xf bank_mask:0xf// 00000000E534: 0B1D1CFA FF00AAFB
	v_mul_f32_dpp v143, v251, v143 quad_perm:[3,3,3,3] row_mask:0xf bank_mask:0xf// 00000000E53C: 0B1F1EFA FF00FFFB
	s_cmp_le_i32 s90, s89                                      // 00000000E544: BF05595A
	s_cbranch_scc1 label_3144                                  // 00000000E548: BF850071
	v_mov_b32_e32 v66, 0xff800000                              // 00000000E54C: 7E8402FF FF800000
	s_mov_b32 s60, s90                                         // 00000000E554: BEBC005A
	s_add_u32 s61, s89, 0xff                                   // 00000000E558: 803DFF59 000000FF
	v_mov_b32_e32 v64, s61                                     // 00000000E560: 7E80023D
	v_lshrrev_b32_e32 v240, 4, v0                              // 00000000E564: 21E00084
	v_mul_i32_i24_e32 v240, 4, v240                            // 00000000E568: 0DE1E084
	v_add_u32_e32 v240, s60, v240                              // 00000000E56C: 69E1E03C
	s_mov_b32 s61, 1                                           // 00000000E570: BEBD0081
	s_mul_i32 s60, 16, s7                                      // 00000000E574: 923C0790
	v_sub_u32_e64 v240, v240, s61                              // 00000000E578: D13500F0 00007BF0
	v_add_u32_e32 v240, s60, v240                              // 00000000E580: 69E1E03C
	v_add_u32_e32 v241, 1, v240                                // 00000000E584: 69E3E081
	v_add_u32_e32 v242, 2, v240                                // 00000000E588: 69E5E082
	v_add_u32_e32 v243, 3, v240                                // 00000000E58C: 69E7E083
	v_cmp_le_u32_e64 s[40:41], v240, v64                       // 00000000E590: D0CB0028 000281F0
	v_add_u32_e32 v240, 64, v240                               // 00000000E598: 69E1E0C0
	s_nop 0                                                    // 00000000E59C: BF800000
	v_cndmask_b32_e64 v128, v66, v128, s[40:41]                // 00000000E5A0: D1000080 00A30142
	v_cmp_le_u32_e64 s[40:41], v241, v64                       // 00000000E5A8: D0CB0028 000281F1
	v_add_u32_e32 v241, 64, v241                               // 00000000E5B0: 69E3E2C0
	s_nop 0                                                    // 00000000E5B4: BF800000
	v_cndmask_b32_e64 v129, v66, v129, s[40:41]                // 00000000E5B8: D1000081 00A30342
	v_cmp_le_u32_e64 s[40:41], v242, v64                       // 00000000E5C0: D0CB0028 000281F2
	v_add_u32_e32 v242, 64, v242                               // 00000000E5C8: 69E5E4C0
	s_nop 0                                                    // 00000000E5CC: BF800000
	v_cndmask_b32_e64 v130, v66, v130, s[40:41]                // 00000000E5D0: D1000082 00A30542
	v_cmp_le_u32_e64 s[40:41], v243, v64                       // 00000000E5D8: D0CB0028 000281F3
	v_add_u32_e32 v243, 64, v243                               // 00000000E5E0: 69E7E6C0
	s_nop 0                                                    // 00000000E5E4: BF800000
	v_cndmask_b32_e64 v131, v66, v131, s[40:41]                // 00000000E5E8: D1000083 00A30742
	v_cmp_le_u32_e64 s[40:41], v240, v64                       // 00000000E5F0: D0CB0028 000281F0
	v_add_u32_e32 v240, 64, v240                               // 00000000E5F8: 69E1E0C0
	s_nop 0                                                    // 00000000E5FC: BF800000
	v_cndmask_b32_e64 v132, v66, v132, s[40:41]                // 00000000E600: D1000084 00A30942
	v_cmp_le_u32_e64 s[40:41], v241, v64                       // 00000000E608: D0CB0028 000281F1
	v_add_u32_e32 v241, 64, v241                               // 00000000E610: 69E3E2C0
	s_nop 0                                                    // 00000000E614: BF800000
	v_cndmask_b32_e64 v133, v66, v133, s[40:41]                // 00000000E618: D1000085 00A30B42
	v_cmp_le_u32_e64 s[40:41], v242, v64                       // 00000000E620: D0CB0028 000281F2
	v_add_u32_e32 v242, 64, v242                               // 00000000E628: 69E5E4C0
	s_nop 0                                                    // 00000000E62C: BF800000
	v_cndmask_b32_e64 v134, v66, v134, s[40:41]                // 00000000E630: D1000086 00A30D42
	v_cmp_le_u32_e64 s[40:41], v243, v64                       // 00000000E638: D0CB0028 000281F3
	v_add_u32_e32 v243, 64, v243                               // 00000000E640: 69E7E6C0
	s_nop 0                                                    // 00000000E644: BF800000
	v_cndmask_b32_e64 v135, v66, v135, s[40:41]                // 00000000E648: D1000087 00A30F42
	v_cmp_le_u32_e64 s[40:41], v240, v64                       // 00000000E650: D0CB0028 000281F0
	v_add_u32_e32 v240, 64, v240                               // 00000000E658: 69E1E0C0
	s_nop 0                                                    // 00000000E65C: BF800000
	v_cndmask_b32_e64 v136, v66, v136, s[40:41]                // 00000000E660: D1000088 00A31142
	v_cmp_le_u32_e64 s[40:41], v241, v64                       // 00000000E668: D0CB0028 000281F1
	v_add_u32_e32 v241, 64, v241                               // 00000000E670: 69E3E2C0
	s_nop 0                                                    // 00000000E674: BF800000
	v_cndmask_b32_e64 v137, v66, v137, s[40:41]                // 00000000E678: D1000089 00A31342
	v_cmp_le_u32_e64 s[40:41], v242, v64                       // 00000000E680: D0CB0028 000281F2
	v_add_u32_e32 v242, 64, v242                               // 00000000E688: 69E5E4C0
	s_nop 0                                                    // 00000000E68C: BF800000
	v_cndmask_b32_e64 v138, v66, v138, s[40:41]                // 00000000E690: D100008A 00A31542
	v_cmp_le_u32_e64 s[40:41], v243, v64                       // 00000000E698: D0CB0028 000281F3
	v_add_u32_e32 v243, 64, v243                               // 00000000E6A0: 69E7E6C0
	s_nop 0                                                    // 00000000E6A4: BF800000
	v_cndmask_b32_e64 v139, v66, v139, s[40:41]                // 00000000E6A8: D100008B 00A31742
	v_cmp_le_u32_e64 s[40:41], v240, v64                       // 00000000E6B0: D0CB0028 000281F0
	v_add_u32_e32 v240, 64, v240                               // 00000000E6B8: 69E1E0C0
	s_nop 0                                                    // 00000000E6BC: BF800000
	v_cndmask_b32_e64 v140, v66, v140, s[40:41]                // 00000000E6C0: D100008C 00A31942
	v_cmp_le_u32_e64 s[40:41], v241, v64                       // 00000000E6C8: D0CB0028 000281F1
	v_add_u32_e32 v241, 64, v241                               // 00000000E6D0: 69E3E2C0
	s_nop 0                                                    // 00000000E6D4: BF800000
	v_cndmask_b32_e64 v141, v66, v141, s[40:41]                // 00000000E6D8: D100008D 00A31B42
	v_cmp_le_u32_e64 s[40:41], v242, v64                       // 00000000E6E0: D0CB0028 000281F2
	v_add_u32_e32 v242, 64, v242                               // 00000000E6E8: 69E5E4C0
	s_nop 0                                                    // 00000000E6EC: BF800000
	v_cndmask_b32_e64 v142, v66, v142, s[40:41]                // 00000000E6F0: D100008E 00A31D42
	v_cmp_le_u32_e64 s[40:41], v243, v64                       // 00000000E6F8: D0CB0028 000281F3
	v_add_u32_e32 v243, 64, v243                               // 00000000E700: 69E7E6C0
	s_nop 0                                                    // 00000000E704: BF800000
	v_cndmask_b32_e64 v143, v66, v143, s[40:41]                // 00000000E708: D100008F 00A31F42

000000000000e710 <label_3144>:
	s_add_u32 s90, s91, s90                                    // 00000000E710: 805A5A5B
	s_and_b32 s60, s72, 0xff                                   // 00000000E714: 863CFF48 000000FF
	v_mov_b32_e32 v65, s60                                     // 00000000E71C: 7E82023C
	v_lshrrev_b32_e32 v240, 4, v0                              // 00000000E720: 21E00084
	v_mul_i32_i24_e32 v240, 4, v240                            // 00000000E724: 0DE1E084
	s_mul_i32 s60, s7, 16                                      // 00000000E728: 923C9007
	v_add_u32_e32 v240, s60, v240                              // 00000000E72C: 69E1E03C
	v_add_u32_e32 v241, 1, v240                                // 00000000E730: 69E3E081
	v_add_u32_e32 v242, 2, v240                                // 00000000E734: 69E5E082
	v_add_u32_e32 v243, 3, v240                                // 00000000E738: 69E7E083
	v_mov_b32_e32 v64, 0xff800000                              // 00000000E73C: 7E8002FF FF800000
	v_cmp_lt_u32_e64 s[40:41], v240, v65                       // 00000000E744: D0C90028 000283F0
	v_add_u32_e32 v240, 64, v240                               // 00000000E74C: 69E1E0C0
	s_nop 0                                                    // 00000000E750: BF800000
	v_cndmask_b32_e64 v128, v64, v128, s[40:41]                // 00000000E754: D1000080 00A30140
	v_cmp_lt_u32_e64 s[40:41], v241, v65                       // 00000000E75C: D0C90028 000283F1
	v_add_u32_e32 v241, 64, v241                               // 00000000E764: 69E3E2C0
	s_nop 0                                                    // 00000000E768: BF800000
	v_cndmask_b32_e64 v129, v64, v129, s[40:41]                // 00000000E76C: D1000081 00A30340
	v_cmp_lt_u32_e64 s[40:41], v242, v65                       // 00000000E774: D0C90028 000283F2
	v_add_u32_e32 v242, 64, v242                               // 00000000E77C: 69E5E4C0
	s_nop 0                                                    // 00000000E780: BF800000
	v_cndmask_b32_e64 v130, v64, v130, s[40:41]                // 00000000E784: D1000082 00A30540
	v_cmp_lt_u32_e64 s[40:41], v243, v65                       // 00000000E78C: D0C90028 000283F3
	v_add_u32_e32 v243, 64, v243                               // 00000000E794: 69E7E6C0
	s_nop 0                                                    // 00000000E798: BF800000
	v_cndmask_b32_e64 v131, v64, v131, s[40:41]                // 00000000E79C: D1000083 00A30740
	v_cmp_lt_u32_e64 s[40:41], v240, v65                       // 00000000E7A4: D0C90028 000283F0
	v_add_u32_e32 v240, 64, v240                               // 00000000E7AC: 69E1E0C0
	s_nop 0                                                    // 00000000E7B0: BF800000
	v_cndmask_b32_e64 v132, v64, v132, s[40:41]                // 00000000E7B4: D1000084 00A30940
	v_cmp_lt_u32_e64 s[40:41], v241, v65                       // 00000000E7BC: D0C90028 000283F1
	v_add_u32_e32 v241, 64, v241                               // 00000000E7C4: 69E3E2C0
	s_nop 0                                                    // 00000000E7C8: BF800000
	v_cndmask_b32_e64 v133, v64, v133, s[40:41]                // 00000000E7CC: D1000085 00A30B40
	v_cmp_lt_u32_e64 s[40:41], v242, v65                       // 00000000E7D4: D0C90028 000283F2
	v_add_u32_e32 v242, 64, v242                               // 00000000E7DC: 69E5E4C0
	s_nop 0                                                    // 00000000E7E0: BF800000
	v_cndmask_b32_e64 v134, v64, v134, s[40:41]                // 00000000E7E4: D1000086 00A30D40
	v_cmp_lt_u32_e64 s[40:41], v243, v65                       // 00000000E7EC: D0C90028 000283F3
	v_add_u32_e32 v243, 64, v243                               // 00000000E7F4: 69E7E6C0
	s_nop 0                                                    // 00000000E7F8: BF800000
	v_cndmask_b32_e64 v135, v64, v135, s[40:41]                // 00000000E7FC: D1000087 00A30F40
	v_cmp_lt_u32_e64 s[40:41], v240, v65                       // 00000000E804: D0C90028 000283F0
	v_add_u32_e32 v240, 64, v240                               // 00000000E80C: 69E1E0C0
	s_nop 0                                                    // 00000000E810: BF800000
	v_cndmask_b32_e64 v136, v64, v136, s[40:41]                // 00000000E814: D1000088 00A31140
	v_cmp_lt_u32_e64 s[40:41], v241, v65                       // 00000000E81C: D0C90028 000283F1
	v_add_u32_e32 v241, 64, v241                               // 00000000E824: 69E3E2C0
	s_nop 0                                                    // 00000000E828: BF800000
	v_cndmask_b32_e64 v137, v64, v137, s[40:41]                // 00000000E82C: D1000089 00A31340
	v_cmp_lt_u32_e64 s[40:41], v242, v65                       // 00000000E834: D0C90028 000283F2
	v_add_u32_e32 v242, 64, v242                               // 00000000E83C: 69E5E4C0
	s_nop 0                                                    // 00000000E840: BF800000
	v_cndmask_b32_e64 v138, v64, v138, s[40:41]                // 00000000E844: D100008A 00A31540
	v_cmp_lt_u32_e64 s[40:41], v243, v65                       // 00000000E84C: D0C90028 000283F3
	v_add_u32_e32 v243, 64, v243                               // 00000000E854: 69E7E6C0
	s_nop 0                                                    // 00000000E858: BF800000
	v_cndmask_b32_e64 v139, v64, v139, s[40:41]                // 00000000E85C: D100008B 00A31740
	v_cmp_lt_u32_e64 s[40:41], v240, v65                       // 00000000E864: D0C90028 000283F0
	v_add_u32_e32 v240, 64, v240                               // 00000000E86C: 69E1E0C0
	s_nop 0                                                    // 00000000E870: BF800000
	v_cndmask_b32_e64 v140, v64, v140, s[40:41]                // 00000000E874: D100008C 00A31940
	v_cmp_lt_u32_e64 s[40:41], v241, v65                       // 00000000E87C: D0C90028 000283F1
	v_add_u32_e32 v241, 64, v241                               // 00000000E884: 69E3E2C0
	s_nop 0                                                    // 00000000E888: BF800000
	v_cndmask_b32_e64 v141, v64, v141, s[40:41]                // 00000000E88C: D100008D 00A31B40
	v_cmp_lt_u32_e64 s[40:41], v242, v65                       // 00000000E894: D0C90028 000283F2
	v_add_u32_e32 v242, 64, v242                               // 00000000E89C: 69E5E4C0
	s_nop 0                                                    // 00000000E8A0: BF800000
	v_cndmask_b32_e64 v142, v64, v142, s[40:41]                // 00000000E8A4: D100008E 00A31D40
	v_cmp_lt_u32_e64 s[40:41], v243, v65                       // 00000000E8AC: D0C90028 000283F3
	v_add_u32_e32 v243, 64, v243                               // 00000000E8B4: 69E7E6C0
	s_nop 0                                                    // 00000000E8B8: BF800000
	v_cndmask_b32_e64 v143, v64, v143, s[40:41]                // 00000000E8BC: D100008F 00A31F40
	v_mov_b32_e32 v48, v128                                    // 00000000E8C4: 7E600380
	v_max3_f32 v48, v128, v129, v48                            // 00000000E8C8: D1D30030 04C30380
	v_max3_f32 v48, v130, v131, v48                            // 00000000E8D0: D1D30030 04C30782
	v_max3_f32 v48, v132, v133, v48                            // 00000000E8D8: D1D30030 04C30B84
	v_max3_f32 v48, v134, v135, v48                            // 00000000E8E0: D1D30030 04C30F86
	v_max3_f32 v48, v136, v137, v48                            // 00000000E8E8: D1D30030 04C31388
	v_max3_f32 v48, v138, v139, v48                            // 00000000E8F0: D1D30030 04C3178A
	v_max3_f32 v48, v140, v141, v48                            // 00000000E8F8: D1D30030 04C31B8C
	v_max3_f32 v48, v142, v143, v48                            // 00000000E900: D1D30030 04C31F8E
	ds_write_b32 v8, v48 offset:16896                          // 00000000E908: D81A4200 00003008
	v_mul_f32_e32 v216, v50, v216                              // 00000000E910: 0BB1B132
	v_mul_f32_e32 v217, v50, v217                              // 00000000E914: 0BB3B332
	v_mul_f32_e32 v218, v50, v218                              // 00000000E918: 0BB5B532
	v_mul_f32_e32 v219, v50, v219                              // 00000000E91C: 0BB7B732
	v_mul_f32_e32 v220, v50, v220                              // 00000000E920: 0BB9B932
	v_mul_f32_e32 v221, v50, v221                              // 00000000E924: 0BBBBB32
	v_mul_f32_e32 v222, v50, v222                              // 00000000E928: 0BBDBD32
	v_mul_f32_e32 v223, v50, v223                              // 00000000E92C: 0BBFBF32
	s_waitcnt lgkmcnt(0)                                       // 00000000E930: BF8CC07F
	s_barrier                                                  // 00000000E934: BF8A0000
	ds_read_b32 v64, v7 offset:16896                           // 00000000E938: D86C4200 40000007
	ds_read_b32 v65, v7 offset:16960                           // 00000000E940: D86C4240 41000007
	ds_read_b32 v66, v7 offset:17024                           // 00000000E948: D86C4280 42000007
	ds_read_b32 v67, v7 offset:17088                           // 00000000E950: D86C42C0 43000007
	ds_read_b32 v68, v7 offset:17152                           // 00000000E958: D86C4300 44000007
	ds_read_b32 v69, v7 offset:17216                           // 00000000E960: D86C4340 45000007
	ds_read_b32 v70, v7 offset:17280                           // 00000000E968: D86C4380 46000007
	ds_read_b32 v71, v7 offset:17344                           // 00000000E970: D86C43C0 47000007
	ds_read_b32 v72, v7 offset:17408                           // 00000000E978: D86C4400 48000007
	ds_read_b32 v73, v7 offset:17472                           // 00000000E980: D86C4440 49000007
	ds_read_b32 v74, v7 offset:17536                           // 00000000E988: D86C4480 4A000007
	ds_read_b32 v75, v7 offset:17600                           // 00000000E990: D86C44C0 4B000007
	ds_read_b32 v76, v7 offset:17664                           // 00000000E998: D86C4500 4C000007
	ds_read_b32 v77, v7 offset:17728                           // 00000000E9A0: D86C4540 4D000007
	ds_read_b32 v78, v7 offset:17792                           // 00000000E9A8: D86C4580 4E000007
	ds_read_b32 v79, v7 offset:17856                           // 00000000E9B0: D86C45C0 4F000007
	v_cvt_f32_i32_e32 v184, v184                               // 00000000E9B8: 7F700BB8
	v_cvt_f32_i32_e32 v185, v185                               // 00000000E9BC: 7F720BB9
	v_cvt_f32_i32_e32 v186, v186                               // 00000000E9C0: 7F740BBA
	v_cvt_f32_i32_e32 v187, v187                               // 00000000E9C4: 7F760BBB
	v_cvt_f32_i32_e32 v188, v188                               // 00000000E9C8: 7F780BBC
	v_cvt_f32_i32_e32 v189, v189                               // 00000000E9CC: 7F7A0BBD
	v_cvt_f32_i32_e32 v190, v190                               // 00000000E9D0: 7F7C0BBE
	v_cvt_f32_i32_e32 v191, v191                               // 00000000E9D4: 7F7E0BBF
	v_mul_f32_e32 v184, v45, v184                              // 00000000E9D8: 0B71712D
	v_mul_f32_e32 v185, v45, v185                              // 00000000E9DC: 0B73732D
	v_mul_f32_e32 v186, v45, v186                              // 00000000E9E0: 0B75752D
	v_mul_f32_e32 v187, v45, v187                              // 00000000E9E4: 0B77772D
	v_mul_f32_e32 v188, v45, v188                              // 00000000E9E8: 0B79792D
	v_mul_f32_e32 v189, v45, v189                              // 00000000E9EC: 0B7B7B2D
	v_mul_f32_e32 v190, v45, v190                              // 00000000E9F0: 0B7D7D2D
	v_mul_f32_e32 v191, v45, v191                              // 00000000E9F4: 0B7F7F2D
	s_waitcnt lgkmcnt(0)                                       // 00000000E9F8: BF8CC07F
	v_max3_f32 v48, v64, v65, v48                              // 00000000E9FC: D1D30030 04C28340
	v_max3_f32 v48, v66, v67, v48                              // 00000000EA04: D1D30030 04C28742
	v_max3_f32 v48, v68, v69, v48                              // 00000000EA0C: D1D30030 04C28B44
	v_max3_f32 v48, v70, v71, v48                              // 00000000EA14: D1D30030 04C28F46
	v_max3_f32 v48, v72, v73, v48                              // 00000000EA1C: D1D30030 04C29348
	v_max3_f32 v48, v74, v75, v48                              // 00000000EA24: D1D30030 04C2974A
	v_max3_f32 v48, v76, v77, v48                              // 00000000EA2C: D1D30030 04C29B4C
	v_max3_f32 v48, v78, v79, v48                              // 00000000EA34: D1D30030 04C29F4E
	v_mov_b32_e32 v64, 0xff800000                              // 00000000EA3C: 7E8002FF FF800000
	v_cmp_eq_u32_e64 s[40:41], v64, v12                        // 00000000EA44: D0CA0028 00021940
	s_nop 1                                                    // 00000000EA4C: BF800001
	v_max_f32_e32 v15, v48, v12                                // 00000000EA50: 161E1930
	v_mul_f32_e32 v53, s64, v15                                // 00000000EA54: 0A6A1E40
	v_fma_f32 v128, v128, s64, -v53                            // 00000000EA58: D1CB0080 84D48180
	v_fma_f32 v129, v129, s64, -v53                            // 00000000EA60: D1CB0081 84D48181
	v_fma_f32 v130, v130, s64, -v53                            // 00000000EA68: D1CB0082 84D48182
	v_fma_f32 v131, v131, s64, -v53                            // 00000000EA70: D1CB0083 84D48183
	v_fma_f32 v132, v132, s64, -v53                            // 00000000EA78: D1CB0084 84D48184
	v_fma_f32 v133, v133, s64, -v53                            // 00000000EA80: D1CB0085 84D48185
	v_fma_f32 v134, v134, s64, -v53                            // 00000000EA88: D1CB0086 84D48186
	v_fma_f32 v135, v135, s64, -v53                            // 00000000EA90: D1CB0087 84D48187
	v_fma_f32 v136, v136, s64, -v53                            // 00000000EA98: D1CB0088 84D48188
	v_fma_f32 v137, v137, s64, -v53                            // 00000000EAA0: D1CB0089 84D48189
	v_fma_f32 v138, v138, s64, -v53                            // 00000000EAA8: D1CB008A 84D4818A
	v_fma_f32 v139, v139, s64, -v53                            // 00000000EAB0: D1CB008B 84D4818B
	v_fma_f32 v140, v140, s64, -v53                            // 00000000EAB8: D1CB008C 84D4818C
	v_fma_f32 v141, v141, s64, -v53                            // 00000000EAC0: D1CB008D 84D4818D
	v_fma_f32 v142, v142, s64, -v53                            // 00000000EAC8: D1CB008E 84D4818E
	v_fma_f32 v143, v143, s64, -v53                            // 00000000EAD0: D1CB008F 84D4818F
	v_exp_f32_e32 v128, v128                                   // 00000000EAD8: 7F004180
	v_exp_f32_e32 v129, v129                                   // 00000000EADC: 7F024181
	v_exp_f32_e32 v130, v130                                   // 00000000EAE0: 7F044182
	v_exp_f32_e32 v131, v131                                   // 00000000EAE4: 7F064183
	v_exp_f32_e32 v132, v132                                   // 00000000EAE8: 7F084184
	v_exp_f32_e32 v133, v133                                   // 00000000EAEC: 7F0A4185
	v_exp_f32_e32 v134, v134                                   // 00000000EAF0: 7F0C4186
	v_exp_f32_e32 v135, v135                                   // 00000000EAF4: 7F0E4187
	v_exp_f32_e32 v136, v136                                   // 00000000EAF8: 7F104188
	v_exp_f32_e32 v137, v137                                   // 00000000EAFC: 7F124189
	v_exp_f32_e32 v138, v138                                   // 00000000EB00: 7F14418A
	v_exp_f32_e32 v139, v139                                   // 00000000EB04: 7F16418B
	v_exp_f32_e32 v140, v140                                   // 00000000EB08: 7F18418C
	v_exp_f32_e32 v141, v141                                   // 00000000EB0C: 7F1A418D
	v_exp_f32_e32 v142, v142                                   // 00000000EB10: 7F1C418E
	v_exp_f32_e32 v143, v143                                   // 00000000EB14: 7F1E418F
	v_mul_f32_dpp v240, v252, v128 quad_perm:[0,0,0,0] row_mask:0xf bank_mask:0xf// 00000000EB18: 0BE100FA FF0000FC
	v_mul_f32_dpp v241, v252, v129 quad_perm:[1,1,1,1] row_mask:0xf bank_mask:0xf// 00000000EB20: 0BE302FA FF0055FC
	v_mul_f32_dpp v242, v252, v130 quad_perm:[2,2,2,2] row_mask:0xf bank_mask:0xf// 00000000EB28: 0BE504FA FF00AAFC
	v_mul_f32_dpp v243, v252, v131 quad_perm:[3,3,3,3] row_mask:0xf bank_mask:0xf// 00000000EB30: 0BE706FA FF00FFFC
	v_mul_f32_dpp v244, v253, v132 quad_perm:[0,0,0,0] row_mask:0xf bank_mask:0xf// 00000000EB38: 0BE908FA FF0000FD
	v_mul_f32_dpp v245, v253, v133 quad_perm:[1,1,1,1] row_mask:0xf bank_mask:0xf// 00000000EB40: 0BEB0AFA FF0055FD
	v_mul_f32_dpp v246, v253, v134 quad_perm:[2,2,2,2] row_mask:0xf bank_mask:0xf// 00000000EB48: 0BED0CFA FF00AAFD
	v_mul_f32_dpp v247, v253, v135 quad_perm:[3,3,3,3] row_mask:0xf bank_mask:0xf// 00000000EB50: 0BEF0EFA FF00FFFD
	v_mul_f32_dpp v248, v254, v136 quad_perm:[0,0,0,0] row_mask:0xf bank_mask:0xf// 00000000EB58: 0BF110FA FF0000FE
	v_mul_f32_dpp v249, v254, v137 quad_perm:[1,1,1,1] row_mask:0xf bank_mask:0xf// 00000000EB60: 0BF312FA FF0055FE
	v_mul_f32_dpp v250, v254, v138 quad_perm:[2,2,2,2] row_mask:0xf bank_mask:0xf// 00000000EB68: 0BF514FA FF00AAFE
	v_mul_f32_dpp v251, v254, v139 quad_perm:[3,3,3,3] row_mask:0xf bank_mask:0xf// 00000000EB70: 0BF716FA FF00FFFE
	v_mul_f32_dpp v252, v255, v140 quad_perm:[0,0,0,0] row_mask:0xf bank_mask:0xf// 00000000EB78: 0BF918FA FF0000FF
	v_mul_f32_dpp v253, v255, v141 quad_perm:[1,1,1,1] row_mask:0xf bank_mask:0xf// 00000000EB80: 0BFB1AFA FF0055FF
	v_mul_f32_dpp v254, v255, v142 quad_perm:[2,2,2,2] row_mask:0xf bank_mask:0xf// 00000000EB88: 0BFD1CFA FF00AAFF
	v_mul_f32_dpp v255, v255, v143 quad_perm:[3,3,3,3] row_mask:0xf bank_mask:0xf// 00000000EB90: 0BFF1EFA FF00FFFF
	v_mov_b32_e32 v48, 0x358637bd                              // 00000000EB98: 7E6002FF 358637BD
	v_max3_f32 v48, |v240|, |v241|, v48                        // 00000000EBA0: D1D30330 04C3E3F0
	v_max3_f32 v48, |v242|, |v243|, v48                        // 00000000EBA8: D1D30330 04C3E7F2
	v_max3_f32 v48, |v244|, |v245|, v48                        // 00000000EBB0: D1D30330 04C3EBF4
	v_max3_f32 v48, |v246|, |v247|, v48                        // 00000000EBB8: D1D30330 04C3EFF6
	v_max3_f32 v48, |v248|, |v249|, v48                        // 00000000EBC0: D1D30330 04C3F3F8
	v_max3_f32 v48, |v250|, |v251|, v48                        // 00000000EBC8: D1D30330 04C3F7FA
	v_max3_f32 v48, |v252|, |v253|, v48                        // 00000000EBD0: D1D30330 04C3FBFC
	v_max3_f32 v48, |v254|, |v255|, v48                        // 00000000EBD8: D1D30330 04C3FFFE
	ds_write_b32 v8, v48 offset:20992                          // 00000000EBE0: D81A5200 00003008
	v_sub_f32_e32 v50, v12, v15                                // 00000000EBE8: 04641F0C
	v_cndmask_b32_e64 v50, v50, 0, s[40:41]                    // 00000000EBEC: D1000032 00A10132
	v_mov_b32_e32 v12, v15                                     // 00000000EBF4: 7E18030F
	v_mul_f32_e32 v50, s64, v50                                // 00000000EBF8: 0A646440
	v_exp_f32_e32 v50, v50                                     // 00000000EBFC: 7E644132
	s_waitcnt lgkmcnt(0)                                       // 00000000EC00: BF8CC07F
	s_barrier                                                  // 00000000EC04: BF8A0000
	ds_read_b32 v64, v7 offset:20992                           // 00000000EC08: D86C5200 40000007
	ds_read_b32 v65, v7 offset:21056                           // 00000000EC10: D86C5240 41000007
	ds_read_b32 v66, v7 offset:21120                           // 00000000EC18: D86C5280 42000007
	ds_read_b32 v67, v7 offset:21184                           // 00000000EC20: D86C52C0 43000007
	ds_read_b32 v68, v7 offset:21248                           // 00000000EC28: D86C5300 44000007
	ds_read_b32 v69, v7 offset:21312                           // 00000000EC30: D86C5340 45000007
	ds_read_b32 v70, v7 offset:21376                           // 00000000EC38: D86C5380 46000007
	ds_read_b32 v71, v7 offset:21440                           // 00000000EC40: D86C53C0 47000007
	ds_read_b32 v72, v7 offset:21504                           // 00000000EC48: D86C5400 48000007
	ds_read_b32 v73, v7 offset:21568                           // 00000000EC50: D86C5440 49000007
	ds_read_b32 v74, v7 offset:21632                           // 00000000EC58: D86C5480 4A000007
	ds_read_b32 v75, v7 offset:21696                           // 00000000EC60: D86C54C0 4B000007
	ds_read_b32 v76, v7 offset:21760                           // 00000000EC68: D86C5500 4C000007
	ds_read_b32 v77, v7 offset:21824                           // 00000000EC70: D86C5540 4D000007
	ds_read_b32 v78, v7 offset:21888                           // 00000000EC78: D86C5580 4E000007
	ds_read_b32 v79, v7 offset:21952                           // 00000000EC80: D86C55C0 4F000007
	v_mul_f32_e32 v39, v50, v39                                // 00000000EC88: 0A4E4F32
	v_mov_b32_e32 v15, v128                                    // 00000000EC8C: 7E1E0380
	v_add_f32_e32 v15, v129, v15                               // 00000000EC90: 021E1F81
	v_add_f32_e32 v15, v130, v15                               // 00000000EC94: 021E1F82
	v_add_f32_e32 v15, v131, v15                               // 00000000EC98: 021E1F83
	v_add_f32_e32 v15, v132, v15                               // 00000000EC9C: 021E1F84
	v_add_f32_e32 v15, v133, v15                               // 00000000ECA0: 021E1F85
	v_add_f32_e32 v15, v134, v15                               // 00000000ECA4: 021E1F86
	v_add_f32_e32 v15, v135, v15                               // 00000000ECA8: 021E1F87
	v_add_f32_e32 v15, v136, v15                               // 00000000ECAC: 021E1F88
	v_add_f32_e32 v15, v137, v15                               // 00000000ECB0: 021E1F89
	v_add_f32_e32 v15, v138, v15                               // 00000000ECB4: 021E1F8A
	v_add_f32_e32 v15, v139, v15                               // 00000000ECB8: 021E1F8B
	v_add_f32_e32 v15, v140, v15                               // 00000000ECBC: 021E1F8C
	v_add_f32_e32 v15, v141, v15                               // 00000000ECC0: 021E1F8D
	v_add_f32_e32 v15, v142, v15                               // 00000000ECC4: 021E1F8E
	v_add_f32_e32 v15, v143, v15                               // 00000000ECC8: 021E1F8F
	v_add_f32_e32 v39, v15, v39                                // 00000000ECCC: 024E4F0F
	s_waitcnt lgkmcnt(0)                                       // 00000000ECD0: BF8CC07F
	v_max3_f32 v48, |v64|, |v65|, v48                          // 00000000ECD4: D1D30330 04C28340
	v_max3_f32 v48, |v66|, |v67|, v48                          // 00000000ECDC: D1D30330 04C28742
	v_max3_f32 v48, |v68|, |v69|, v48                          // 00000000ECE4: D1D30330 04C28B44
	v_max3_f32 v48, |v70|, |v71|, v48                          // 00000000ECEC: D1D30330 04C28F46
	v_max3_f32 v48, |v72|, |v73|, v48                          // 00000000ECF4: D1D30330 04C29348
	v_max3_f32 v48, |v74|, |v75|, v48                          // 00000000ECFC: D1D30330 04C2974A
	v_max3_f32 v48, |v76|, |v77|, v48                          // 00000000ED04: D1D30330 04C29B4C
	v_max3_f32 v48, |v78|, |v79|, v48                          // 00000000ED0C: D1D30330 04C29F4E
	s_nop 2                                                    // 00000000ED14: BF800002
	v_rcp_f32_e32 v48, v48                                     // 00000000ED18: 7E604530
	s_nop 1                                                    // 00000000ED1C: BF800001
	v_mul_f32_e32 v48, 0x42fe0000, v48                         // 00000000ED20: 0A6060FF 42FE0000
	v_mul_f32_e32 v128, v48, v240                              // 00000000ED28: 0B01E130
	v_mul_f32_e32 v129, v48, v241                              // 00000000ED2C: 0B03E330
	v_mul_f32_e32 v130, v48, v242                              // 00000000ED30: 0B05E530
	v_mul_f32_e32 v131, v48, v243                              // 00000000ED34: 0B07E730
	v_mul_f32_e32 v132, v48, v244                              // 00000000ED38: 0B09E930
	v_mul_f32_e32 v133, v48, v245                              // 00000000ED3C: 0B0BEB30
	v_mul_f32_e32 v134, v48, v246                              // 00000000ED40: 0B0DED30
	v_mul_f32_e32 v135, v48, v247                              // 00000000ED44: 0B0FEF30
	v_mul_f32_e32 v136, v48, v248                              // 00000000ED48: 0B11F130
	v_mul_f32_e32 v137, v48, v249                              // 00000000ED4C: 0B13F330
	v_mul_f32_e32 v138, v48, v250                              // 00000000ED50: 0B15F530
	v_mul_f32_e32 v139, v48, v251                              // 00000000ED54: 0B17F730
	v_mul_f32_e32 v140, v48, v252                              // 00000000ED58: 0B19F930
	v_mul_f32_e32 v141, v48, v253                              // 00000000ED5C: 0B1BFB30
	v_mul_f32_e32 v142, v48, v254                              // 00000000ED60: 0B1DFD30
	v_mul_f32_e32 v143, v48, v255                              // 00000000ED64: 0B1FFF30
	v_cvt_i32_f32_e32 v128, v128                               // 00000000ED68: 7F001180
	v_cvt_i32_f32_e32 v129, v129                               // 00000000ED6C: 7F021181
	v_cvt_i32_f32_e32 v130, v130                               // 00000000ED70: 7F041182
	v_cvt_i32_f32_e32 v131, v131                               // 00000000ED74: 7F061183
	v_cvt_i32_f32_e32 v132, v132                               // 00000000ED78: 7F081184
	v_cvt_i32_f32_e32 v133, v133                               // 00000000ED7C: 7F0A1185
	v_cvt_i32_f32_e32 v134, v134                               // 00000000ED80: 7F0C1186
	v_cvt_i32_f32_e32 v135, v135                               // 00000000ED84: 7F0E1187
	v_cvt_i32_f32_e32 v136, v136                               // 00000000ED88: 7F101188
	v_cvt_i32_f32_e32 v137, v137                               // 00000000ED8C: 7F121189
	v_cvt_i32_f32_e32 v138, v138                               // 00000000ED90: 7F14118A
	v_cvt_i32_f32_e32 v139, v139                               // 00000000ED94: 7F16118B
	v_cvt_i32_f32_e32 v140, v140                               // 00000000ED98: 7F18118C
	v_cvt_i32_f32_e32 v141, v141                               // 00000000ED9C: 7F1A118D
	v_cvt_i32_f32_e32 v142, v142                               // 00000000EDA0: 7F1C118E
	v_cvt_i32_f32_e32 v143, v143                               // 00000000EDA4: 7F1E118F
	v_perm_b32 v128, v129, v128, s53                           // 00000000EDA8: D1ED0080 00D70181
	v_perm_b32 v128, v130, v128, s54                           // 00000000EDB0: D1ED0080 00DB0182
	v_perm_b32 v128, v131, v128, s55                           // 00000000EDB8: D1ED0080 00DF0183
	v_perm_b32 v129, v133, v132, s53                           // 00000000EDC0: D1ED0081 00D70985
	v_perm_b32 v129, v134, v129, s54                           // 00000000EDC8: D1ED0081 00DB0386
	v_perm_b32 v129, v135, v129, s55                           // 00000000EDD0: D1ED0081 00DF0387
	v_perm_b32 v130, v137, v136, s53                           // 00000000EDD8: D1ED0082 00D71189
	v_perm_b32 v130, v138, v130, s54                           // 00000000EDE0: D1ED0082 00DB058A
	v_perm_b32 v130, v139, v130, s55                           // 00000000EDE8: D1ED0082 00DF058B
	v_perm_b32 v131, v141, v140, s53                           // 00000000EDF0: D1ED0083 00D7198D
	v_perm_b32 v131, v142, v131, s54                           // 00000000EDF8: D1ED0083 00DB078E
	v_perm_b32 v131, v143, v131, s55                           // 00000000EE00: D1ED0083 00DF078F
	ds_write_b32 v10, v128 offset:29184                        // 00000000EE08: D81A7200 0000800A
	ds_write_b32 v10, v129 offset:30208                        // 00000000EE10: D81A7600 0000810A
	ds_write_b32 v10, v130 offset:31232                        // 00000000EE18: D81A7A00 0000820A
	ds_write_b32 v10, v131 offset:32256                        // 00000000EE20: D81A7E00 0000830A
	v_add_f32_e32 v216, v216, v184                             // 00000000EE28: 03B171D8
	v_add_f32_e32 v217, v217, v185                             // 00000000EE2C: 03B373D9
	v_add_f32_e32 v218, v218, v186                             // 00000000EE30: 03B575DA
	v_add_f32_e32 v219, v219, v187                             // 00000000EE34: 03B777DB
	v_add_f32_e32 v220, v220, v188                             // 00000000EE38: 03B979DC
	v_add_f32_e32 v221, v221, v189                             // 00000000EE3C: 03BB7BDD
	v_add_f32_e32 v222, v222, v190                             // 00000000EE40: 03BD7DDE
	v_add_f32_e32 v223, v223, v191                             // 00000000EE44: 03BF7FDF
	v_rcp_f32_e32 v45, v48                                     // 00000000EE48: 7E5A4530
	s_waitcnt lgkmcnt(0)                                       // 00000000EE4C: BF8CC07F
	s_barrier                                                  // 00000000EE50: BF8A0000
	ds_read_b64 v[128:129], v9 offset:29184                    // 00000000EE54: D8EC7200 80000009
	ds_read_b64 v[130:131], v9 offset:29312                    // 00000000EE5C: D8EC7280 82000009
	ds_read_b64 v[132:133], v9 offset:30208                    // 00000000EE64: D8EC7600 84000009
	ds_read_b64 v[134:135], v9 offset:30336                    // 00000000EE6C: D8EC7680 86000009
	ds_read_b64 v[136:137], v9 offset:31232                    // 00000000EE74: D8EC7A00 88000009
	ds_read_b64 v[138:139], v9 offset:31360                    // 00000000EE7C: D8EC7A80 8A000009
	ds_read_b64 v[140:141], v9 offset:32256                    // 00000000EE84: D8EC7E00 8C000009
	ds_read_b64 v[142:143], v9 offset:32384                    // 00000000EE8C: D8EC7E80 8E000009
	s_waitcnt vmcnt(0)                                         // 00000000EE94: BF8C0F70
	s_barrier                                                  // 00000000EE98: BF8A0000
	v_mfma_i32_16x16x32_i8 v[176:179], a[64:65], v[112:113], 0 // 00000000EE9C: D3D700B0 0A02E140
	v_mfma_i32_16x16x32_i8 v[176:179], a[66:67], v[114:115], v[176:179]// 00000000EEA4: D3D700B0 0EC2E542
	v_mfma_i32_16x16x32_i8 v[176:179], a[68:69], v[116:117], v[176:179]// 00000000EEAC: D3D700B0 0EC2E944
	v_mfma_i32_16x16x32_i8 v[176:179], a[70:71], v[118:119], v[176:179]// 00000000EEB4: D3D700B0 0EC2ED46
	v_mfma_i32_16x16x32_i8 v[176:179], a[72:73], v[120:121], v[176:179]// 00000000EEBC: D3D700B0 0EC2F148
	v_mfma_i32_16x16x32_i8 v[176:179], a[74:75], v[122:123], v[176:179]// 00000000EEC4: D3D700B0 0EC2F54A
	v_mfma_i32_16x16x32_i8 v[176:179], a[76:77], v[124:125], v[176:179]// 00000000EECC: D3D700B0 0EC2F94C
	v_mfma_i32_16x16x32_i8 v[176:179], a[78:79], v[126:127], v[176:179]// 00000000EED4: D3D700B0 0EC2FD4E
	v_mfma_i32_16x16x32_i8 v[180:183], a[80:81], v[112:113], 0 // 00000000EEDC: D3D700B4 0A02E150
	v_mfma_i32_16x16x32_i8 v[180:183], a[82:83], v[114:115], v[180:183]// 00000000EEE4: D3D700B4 0ED2E552
	v_mfma_i32_16x16x32_i8 v[180:183], a[84:85], v[116:117], v[180:183]// 00000000EEEC: D3D700B4 0ED2E954
	v_mfma_i32_16x16x32_i8 v[180:183], a[86:87], v[118:119], v[180:183]// 00000000EEF4: D3D700B4 0ED2ED56
	v_mfma_i32_16x16x32_i8 v[180:183], a[88:89], v[120:121], v[180:183]// 00000000EEFC: D3D700B4 0ED2F158
	v_mfma_i32_16x16x32_i8 v[180:183], a[90:91], v[122:123], v[180:183]// 00000000EF04: D3D700B4 0ED2F55A
	v_mfma_i32_16x16x32_i8 v[180:183], a[92:93], v[124:125], v[180:183]// 00000000EF0C: D3D700B4 0ED2F95C
	v_mfma_i32_16x16x32_i8 v[180:183], a[94:95], v[126:127], v[180:183]// 00000000EF14: D3D700B4 0ED2FD5E
	v_mfma_i32_16x16x32_i8 v[184:187], a[64:65], v[128:129], 0 // 00000000EF1C: D3D700B8 0A030140
	v_mfma_i32_16x16x32_i8 v[184:187], a[66:67], v[130:131], v[184:187]// 00000000EF24: D3D700B8 0EE30542
	v_mfma_i32_16x16x32_i8 v[184:187], a[68:69], v[132:133], v[184:187]// 00000000EF2C: D3D700B8 0EE30944
	v_mfma_i32_16x16x32_i8 v[184:187], a[70:71], v[134:135], v[184:187]// 00000000EF34: D3D700B8 0EE30D46
	v_mfma_i32_16x16x32_i8 v[184:187], a[72:73], v[136:137], v[184:187]// 00000000EF3C: D3D700B8 0EE31148
	v_mfma_i32_16x16x32_i8 v[184:187], a[74:75], v[138:139], v[184:187]// 00000000EF44: D3D700B8 0EE3154A
	v_mfma_i32_16x16x32_i8 v[184:187], a[76:77], v[140:141], v[184:187]// 00000000EF4C: D3D700B8 0EE3194C
	v_mfma_i32_16x16x32_i8 v[184:187], a[78:79], v[142:143], v[184:187]// 00000000EF54: D3D700B8 0EE31D4E
	v_mfma_i32_16x16x32_i8 v[188:191], a[80:81], v[128:129], 0 // 00000000EF5C: D3D700BC 0A030150
	v_mfma_i32_16x16x32_i8 v[188:191], a[82:83], v[130:131], v[188:191]// 00000000EF64: D3D700BC 0EF30552
	v_mfma_i32_16x16x32_i8 v[188:191], a[84:85], v[132:133], v[188:191]// 00000000EF6C: D3D700BC 0EF30954
	v_mfma_i32_16x16x32_i8 v[188:191], a[86:87], v[134:135], v[188:191]// 00000000EF74: D3D700BC 0EF30D56
	v_mfma_i32_16x16x32_i8 v[188:191], a[88:89], v[136:137], v[188:191]// 00000000EF7C: D3D700BC 0EF31158
	v_mfma_i32_16x16x32_i8 v[188:191], a[90:91], v[138:139], v[188:191]// 00000000EF84: D3D700BC 0EF3155A
	v_mfma_i32_16x16x32_i8 v[188:191], a[92:93], v[140:141], v[188:191]// 00000000EF8C: D3D700BC 0EF3195C
	v_mfma_i32_16x16x32_i8 v[188:191], a[94:95], v[142:143], v[188:191]// 00000000EF94: D3D700BC 0EF31D5E
	s_nop 4                                                    // 00000000EF9C: BF800004
	s_branch label_398A                                        // 00000000EFA0: BF820621

000000000000efa4 <label_3369>:
	s_waitcnt vmcnt(8) lgkmcnt(0)                              // 00000000EFA4: BF8C0078
	s_barrier                                                  // 00000000EFA8: BF8A0000
	v_mfma_i32_16x16x32_i8 v[112:115], a[32:33], v[80:81], 0   // 00000000EFAC: D3D70070 0A02A120
	v_mfma_i32_16x16x32_i8 v[112:115], a[34:35], v[82:83], v[112:115]// 00000000EFB4: D3D70070 0DC2A522
	v_mfma_i32_16x16x32_i8 v[112:115], a[36:37], v[84:85], v[112:115]// 00000000EFBC: D3D70070 0DC2A924
	v_mfma_i32_16x16x32_i8 v[112:115], a[38:39], v[86:87], v[112:115]// 00000000EFC4: D3D70070 0DC2AD26
	v_mfma_i32_16x16x32_i8 v[116:119], a[40:41], v[80:81], 0   // 00000000EFCC: D3D70074 0A02A128
	v_mfma_i32_16x16x32_i8 v[116:119], a[42:43], v[82:83], v[116:119]// 00000000EFD4: D3D70074 0DD2A52A
	v_mfma_i32_16x16x32_i8 v[116:119], a[44:45], v[84:85], v[116:119]// 00000000EFDC: D3D70074 0DD2A92C
	v_mfma_i32_16x16x32_i8 v[116:119], a[46:47], v[86:87], v[116:119]// 00000000EFE4: D3D70074 0DD2AD2E
	v_mfma_i32_16x16x32_i8 v[120:123], a[48:49], v[80:81], 0   // 00000000EFEC: D3D70078 0A02A130
	v_mfma_i32_16x16x32_i8 v[120:123], a[50:51], v[82:83], v[120:123]// 00000000EFF4: D3D70078 0DE2A532
	v_mfma_i32_16x16x32_i8 v[120:123], a[52:53], v[84:85], v[120:123]// 00000000EFFC: D3D70078 0DE2A934
	v_mfma_i32_16x16x32_i8 v[120:123], a[54:55], v[86:87], v[120:123]// 00000000F004: D3D70078 0DE2AD36
	v_mfma_i32_16x16x32_i8 v[124:127], a[56:57], v[80:81], 0   // 00000000F00C: D3D7007C 0A02A138
	v_mfma_i32_16x16x32_i8 v[124:127], a[58:59], v[82:83], v[124:127]// 00000000F014: D3D7007C 0DF2A53A
	v_mfma_i32_16x16x32_i8 v[124:127], a[60:61], v[84:85], v[124:127]// 00000000F01C: D3D7007C 0DF2A93C
	v_mfma_i32_16x16x32_i8 v[124:127], a[62:63], v[86:87], v[124:127]// 00000000F024: D3D7007C 0DF2AD3E
	v_mfma_i32_16x16x32_i8 v[128:131], a[32:33], v[88:89], 0   // 00000000F02C: D3D70080 0A02B120
	v_mfma_i32_16x16x32_i8 v[128:131], a[34:35], v[90:91], v[128:131]// 00000000F034: D3D70080 0E02B522
	v_mfma_i32_16x16x32_i8 v[128:131], a[36:37], v[92:93], v[128:131]// 00000000F03C: D3D70080 0E02B924
	v_mfma_i32_16x16x32_i8 v[128:131], a[38:39], v[94:95], v[128:131]// 00000000F044: D3D70080 0E02BD26
	v_mfma_i32_16x16x32_i8 v[132:135], a[40:41], v[88:89], 0   // 00000000F04C: D3D70084 0A02B128
	v_mfma_i32_16x16x32_i8 v[132:135], a[42:43], v[90:91], v[132:135]// 00000000F054: D3D70084 0E12B52A
	v_mfma_i32_16x16x32_i8 v[132:135], a[44:45], v[92:93], v[132:135]// 00000000F05C: D3D70084 0E12B92C
	v_mfma_i32_16x16x32_i8 v[132:135], a[46:47], v[94:95], v[132:135]// 00000000F064: D3D70084 0E12BD2E
	v_mfma_i32_16x16x32_i8 v[136:139], a[48:49], v[88:89], 0   // 00000000F06C: D3D70088 0A02B130
	v_mfma_i32_16x16x32_i8 v[136:139], a[50:51], v[90:91], v[136:139]// 00000000F074: D3D70088 0E22B532
	v_mfma_i32_16x16x32_i8 v[136:139], a[52:53], v[92:93], v[136:139]// 00000000F07C: D3D70088 0E22B934
	v_mfma_i32_16x16x32_i8 v[136:139], a[54:55], v[94:95], v[136:139]// 00000000F084: D3D70088 0E22BD36
	v_mfma_i32_16x16x32_i8 v[140:143], a[56:57], v[88:89], 0   // 00000000F08C: D3D7008C 0A02B138
	v_mfma_i32_16x16x32_i8 v[140:143], a[58:59], v[90:91], v[140:143]// 00000000F094: D3D7008C 0E32B53A
	v_mfma_i32_16x16x32_i8 v[140:143], a[60:61], v[92:93], v[140:143]// 00000000F09C: D3D7008C 0E32B93C
	v_mfma_i32_16x16x32_i8 v[140:143], a[62:63], v[94:95], v[140:143]// 00000000F0A4: D3D7008C 0E32BD3E
	v_mov_b32_dpp v64, v43 row_shr:4 row_mask:0xf bank_mask:0xf// 00000000F0AC: 7E8002FA FF01142B
	v_mov_b32_dpp v65, v43 row_shl:4 row_mask:0xf bank_mask:0xf// 00000000F0B4: 7E8202FA FF01042B
	v_cndmask_b32_e64 v248, v43, v64, s[44:45]                 // 00000000F0BC: D10000F8 00B2812B
	v_cndmask_b32_e64 v249, v65, v43, s[44:45]                 // 00000000F0C4: D10000F9 00B25741
	v_mov_b32_dpp v64, v248 row_shr:8 row_mask:0xf bank_mask:0xf// 00000000F0CC: 7E8002FA FF0118F8
	v_mov_b32_dpp v65, v248 row_shl:8 row_mask:0xf bank_mask:0xf// 00000000F0D4: 7E8202FA FF0108F8
	v_mov_b32_dpp v66, v249 row_shr:8 row_mask:0xf bank_mask:0xf// 00000000F0DC: 7E8402FA FF0118F9
	v_mov_b32_dpp v67, v249 row_shl:8 row_mask:0xf bank_mask:0xf// 00000000F0E4: 7E8602FA FF0108F9
	v_mov_b32_e32 v68, v248                                    // 00000000F0EC: 7E8803F8
	v_mov_b32_e32 v69, v249                                    // 00000000F0F0: 7E8A03F9
	v_cndmask_b32_e64 v248, v68, v64, s[42:43]                 // 00000000F0F4: D10000F8 00AA8144
	v_cndmask_b32_e64 v250, v68, v65, s[78:79]                 // 00000000F0FC: D10000FA 013A8344
	v_cndmask_b32_e64 v249, v69, v66, s[42:43]                 // 00000000F104: D10000F9 00AA8545
	v_cndmask_b32_e64 v251, v69, v67, s[78:79]                 // 00000000F10C: D10000FB 013A8745
	v_mov_b32_dpp v64, v58 row_shr:4 row_mask:0xf bank_mask:0xf// 00000000F114: 7E8002FA FF01143A
	v_mov_b32_dpp v65, v58 row_shl:4 row_mask:0xf bank_mask:0xf// 00000000F11C: 7E8202FA FF01043A
	v_cndmask_b32_e64 v252, v58, v64, s[44:45]                 // 00000000F124: D10000FC 00B2813A
	v_cndmask_b32_e64 v253, v65, v58, s[44:45]                 // 00000000F12C: D10000FD 00B27541
	v_mov_b32_dpp v64, v252 row_shr:8 row_mask:0xf bank_mask:0xf// 00000000F134: 7E8002FA FF0118FC
	v_mov_b32_dpp v65, v252 row_shl:8 row_mask:0xf bank_mask:0xf// 00000000F13C: 7E8202FA FF0108FC
	v_mov_b32_dpp v66, v253 row_shr:8 row_mask:0xf bank_mask:0xf// 00000000F144: 7E8402FA FF0118FD
	v_mov_b32_dpp v67, v253 row_shl:8 row_mask:0xf bank_mask:0xf// 00000000F14C: 7E8602FA FF0108FD
	v_mov_b32_e32 v68, v252                                    // 00000000F154: 7E8803FC
	v_mov_b32_e32 v69, v253                                    // 00000000F158: 7E8A03FD
	v_cndmask_b32_e64 v252, v68, v64, s[42:43]                 // 00000000F15C: D10000FC 00AA8144
	v_cndmask_b32_e64 v254, v68, v65, s[78:79]                 // 00000000F164: D10000FE 013A8344
	v_cndmask_b32_e64 v253, v69, v66, s[42:43]                 // 00000000F16C: D10000FD 00AA8545
	v_cndmask_b32_e64 v255, v69, v67, s[78:79]                 // 00000000F174: D10000FF 013A8745
	v_cvt_f32_i32_e32 v112, v112                               // 00000000F17C: 7EE00B70
	v_cvt_f32_i32_e32 v113, v113                               // 00000000F180: 7EE20B71
	v_cvt_f32_i32_e32 v114, v114                               // 00000000F184: 7EE40B72
	v_cvt_f32_i32_e32 v115, v115                               // 00000000F188: 7EE60B73
	v_cvt_f32_i32_e32 v116, v116                               // 00000000F18C: 7EE80B74
	v_cvt_f32_i32_e32 v117, v117                               // 00000000F190: 7EEA0B75
	v_cvt_f32_i32_e32 v118, v118                               // 00000000F194: 7EEC0B76
	v_cvt_f32_i32_e32 v119, v119                               // 00000000F198: 7EEE0B77
	v_cvt_f32_i32_e32 v120, v120                               // 00000000F19C: 7EF00B78
	v_cvt_f32_i32_e32 v121, v121                               // 00000000F1A0: 7EF20B79
	v_cvt_f32_i32_e32 v122, v122                               // 00000000F1A4: 7EF40B7A
	v_cvt_f32_i32_e32 v123, v123                               // 00000000F1A8: 7EF60B7B
	v_cvt_f32_i32_e32 v124, v124                               // 00000000F1AC: 7EF80B7C
	v_cvt_f32_i32_e32 v125, v125                               // 00000000F1B0: 7EFA0B7D
	v_cvt_f32_i32_e32 v126, v126                               // 00000000F1B4: 7EFC0B7E
	v_cvt_f32_i32_e32 v127, v127                               // 00000000F1B8: 7EFE0B7F
	v_mul_f32_e32 v112, v18, v112                              // 00000000F1BC: 0AE0E112
	v_mul_f32_e32 v113, v18, v113                              // 00000000F1C0: 0AE2E312
	v_mul_f32_e32 v114, v18, v114                              // 00000000F1C4: 0AE4E512
	v_mul_f32_e32 v115, v18, v115                              // 00000000F1C8: 0AE6E712
	v_mul_f32_e32 v116, v18, v116                              // 00000000F1CC: 0AE8E912
	v_mul_f32_e32 v117, v18, v117                              // 00000000F1D0: 0AEAEB12
	v_mul_f32_e32 v118, v18, v118                              // 00000000F1D4: 0AECED12
	v_mul_f32_e32 v119, v18, v119                              // 00000000F1D8: 0AEEEF12
	v_mul_f32_e32 v120, v18, v120                              // 00000000F1DC: 0AF0F112
	v_mul_f32_e32 v121, v18, v121                              // 00000000F1E0: 0AF2F312
	v_mul_f32_e32 v122, v18, v122                              // 00000000F1E4: 0AF4F512
	v_mul_f32_e32 v123, v18, v123                              // 00000000F1E8: 0AF6F712
	v_mul_f32_e32 v124, v18, v124                              // 00000000F1EC: 0AF8F912
	v_mul_f32_e32 v125, v18, v125                              // 00000000F1F0: 0AFAFB12
	v_mul_f32_e32 v126, v18, v126                              // 00000000F1F4: 0AFCFD12
	v_mul_f32_e32 v127, v18, v127                              // 00000000F1F8: 0AFEFF12
	v_mul_f32_dpp v112, v248, v112 quad_perm:[0,0,0,0] row_mask:0xf bank_mask:0xf// 00000000F1FC: 0AE0E0FA FF0000F8
	v_mul_f32_dpp v113, v248, v113 quad_perm:[1,1,1,1] row_mask:0xf bank_mask:0xf// 00000000F204: 0AE2E2FA FF0055F8
	v_mul_f32_dpp v114, v248, v114 quad_perm:[2,2,2,2] row_mask:0xf bank_mask:0xf// 00000000F20C: 0AE4E4FA FF00AAF8
	v_mul_f32_dpp v115, v248, v115 quad_perm:[3,3,3,3] row_mask:0xf bank_mask:0xf// 00000000F214: 0AE6E6FA FF00FFF8
	v_mul_f32_dpp v116, v249, v116 quad_perm:[0,0,0,0] row_mask:0xf bank_mask:0xf// 00000000F21C: 0AE8E8FA FF0000F9
	v_mul_f32_dpp v117, v249, v117 quad_perm:[1,1,1,1] row_mask:0xf bank_mask:0xf// 00000000F224: 0AEAEAFA FF0055F9
	v_mul_f32_dpp v118, v249, v118 quad_perm:[2,2,2,2] row_mask:0xf bank_mask:0xf// 00000000F22C: 0AECECFA FF00AAF9
	v_mul_f32_dpp v119, v249, v119 quad_perm:[3,3,3,3] row_mask:0xf bank_mask:0xf// 00000000F234: 0AEEEEFA FF00FFF9
	v_mul_f32_dpp v120, v250, v120 quad_perm:[0,0,0,0] row_mask:0xf bank_mask:0xf// 00000000F23C: 0AF0F0FA FF0000FA
	v_mul_f32_dpp v121, v250, v121 quad_perm:[1,1,1,1] row_mask:0xf bank_mask:0xf// 00000000F244: 0AF2F2FA FF0055FA
	v_mul_f32_dpp v122, v250, v122 quad_perm:[2,2,2,2] row_mask:0xf bank_mask:0xf// 00000000F24C: 0AF4F4FA FF00AAFA
	v_mul_f32_dpp v123, v250, v123 quad_perm:[3,3,3,3] row_mask:0xf bank_mask:0xf// 00000000F254: 0AF6F6FA FF00FFFA
	v_mul_f32_dpp v124, v251, v124 quad_perm:[0,0,0,0] row_mask:0xf bank_mask:0xf// 00000000F25C: 0AF8F8FA FF0000FB
	v_mul_f32_dpp v125, v251, v125 quad_perm:[1,1,1,1] row_mask:0xf bank_mask:0xf// 00000000F264: 0AFAFAFA FF0055FB
	v_mul_f32_dpp v126, v251, v126 quad_perm:[2,2,2,2] row_mask:0xf bank_mask:0xf// 00000000F26C: 0AFCFCFA FF00AAFB
	v_mul_f32_dpp v127, v251, v127 quad_perm:[3,3,3,3] row_mask:0xf bank_mask:0xf// 00000000F274: 0AFEFEFA FF00FFFB
	s_cmp_le_i32 s90, s89                                      // 00000000F27C: BF05595A
	s_cbranch_scc1 label_3492                                  // 00000000F280: BF850071
	v_mov_b32_e32 v66, 0xff800000                              // 00000000F284: 7E8402FF FF800000
	s_mov_b32 s60, s90                                         // 00000000F28C: BEBC005A
	s_add_u32 s61, s89, 0xff                                   // 00000000F290: 803DFF59 000000FF
	v_mov_b32_e32 v64, s61                                     // 00000000F298: 7E80023D
	v_lshrrev_b32_e32 v240, 4, v0                              // 00000000F29C: 21E00084
	v_mul_i32_i24_e32 v240, 4, v240                            // 00000000F2A0: 0DE1E084
	v_add_u32_e32 v240, s60, v240                              // 00000000F2A4: 69E1E03C
	s_mov_b32 s61, 0                                           // 00000000F2A8: BEBD0080
	s_mul_i32 s60, 16, s7                                      // 00000000F2AC: 923C0790
	v_sub_u32_e64 v240, v240, s61                              // 00000000F2B0: D13500F0 00007BF0
	v_add_u32_e32 v240, s60, v240                              // 00000000F2B8: 69E1E03C
	v_add_u32_e32 v241, 1, v240                                // 00000000F2BC: 69E3E081
	v_add_u32_e32 v242, 2, v240                                // 00000000F2C0: 69E5E082
	v_add_u32_e32 v243, 3, v240                                // 00000000F2C4: 69E7E083
	v_cmp_le_u32_e64 s[40:41], v240, v64                       // 00000000F2C8: D0CB0028 000281F0
	v_add_u32_e32 v240, 64, v240                               // 00000000F2D0: 69E1E0C0
	s_nop 0                                                    // 00000000F2D4: BF800000
	v_cndmask_b32_e64 v112, v66, v112, s[40:41]                // 00000000F2D8: D1000070 00A2E142
	v_cmp_le_u32_e64 s[40:41], v241, v64                       // 00000000F2E0: D0CB0028 000281F1
	v_add_u32_e32 v241, 64, v241                               // 00000000F2E8: 69E3E2C0
	s_nop 0                                                    // 00000000F2EC: BF800000
	v_cndmask_b32_e64 v113, v66, v113, s[40:41]                // 00000000F2F0: D1000071 00A2E342
	v_cmp_le_u32_e64 s[40:41], v242, v64                       // 00000000F2F8: D0CB0028 000281F2
	v_add_u32_e32 v242, 64, v242                               // 00000000F300: 69E5E4C0
	s_nop 0                                                    // 00000000F304: BF800000
	v_cndmask_b32_e64 v114, v66, v114, s[40:41]                // 00000000F308: D1000072 00A2E542
	v_cmp_le_u32_e64 s[40:41], v243, v64                       // 00000000F310: D0CB0028 000281F3
	v_add_u32_e32 v243, 64, v243                               // 00000000F318: 69E7E6C0
	s_nop 0                                                    // 00000000F31C: BF800000
	v_cndmask_b32_e64 v115, v66, v115, s[40:41]                // 00000000F320: D1000073 00A2E742
	v_cmp_le_u32_e64 s[40:41], v240, v64                       // 00000000F328: D0CB0028 000281F0
	v_add_u32_e32 v240, 64, v240                               // 00000000F330: 69E1E0C0
	s_nop 0                                                    // 00000000F334: BF800000
	v_cndmask_b32_e64 v116, v66, v116, s[40:41]                // 00000000F338: D1000074 00A2E942
	v_cmp_le_u32_e64 s[40:41], v241, v64                       // 00000000F340: D0CB0028 000281F1
	v_add_u32_e32 v241, 64, v241                               // 00000000F348: 69E3E2C0
	s_nop 0                                                    // 00000000F34C: BF800000
	v_cndmask_b32_e64 v117, v66, v117, s[40:41]                // 00000000F350: D1000075 00A2EB42
	v_cmp_le_u32_e64 s[40:41], v242, v64                       // 00000000F358: D0CB0028 000281F2
	v_add_u32_e32 v242, 64, v242                               // 00000000F360: 69E5E4C0
	s_nop 0                                                    // 00000000F364: BF800000
	v_cndmask_b32_e64 v118, v66, v118, s[40:41]                // 00000000F368: D1000076 00A2ED42
	v_cmp_le_u32_e64 s[40:41], v243, v64                       // 00000000F370: D0CB0028 000281F3
	v_add_u32_e32 v243, 64, v243                               // 00000000F378: 69E7E6C0
	s_nop 0                                                    // 00000000F37C: BF800000
	v_cndmask_b32_e64 v119, v66, v119, s[40:41]                // 00000000F380: D1000077 00A2EF42
	v_cmp_le_u32_e64 s[40:41], v240, v64                       // 00000000F388: D0CB0028 000281F0
	v_add_u32_e32 v240, 64, v240                               // 00000000F390: 69E1E0C0
	s_nop 0                                                    // 00000000F394: BF800000
	v_cndmask_b32_e64 v120, v66, v120, s[40:41]                // 00000000F398: D1000078 00A2F142
	v_cmp_le_u32_e64 s[40:41], v241, v64                       // 00000000F3A0: D0CB0028 000281F1
	v_add_u32_e32 v241, 64, v241                               // 00000000F3A8: 69E3E2C0
	s_nop 0                                                    // 00000000F3AC: BF800000
	v_cndmask_b32_e64 v121, v66, v121, s[40:41]                // 00000000F3B0: D1000079 00A2F342
	v_cmp_le_u32_e64 s[40:41], v242, v64                       // 00000000F3B8: D0CB0028 000281F2
	v_add_u32_e32 v242, 64, v242                               // 00000000F3C0: 69E5E4C0
	s_nop 0                                                    // 00000000F3C4: BF800000
	v_cndmask_b32_e64 v122, v66, v122, s[40:41]                // 00000000F3C8: D100007A 00A2F542
	v_cmp_le_u32_e64 s[40:41], v243, v64                       // 00000000F3D0: D0CB0028 000281F3
	v_add_u32_e32 v243, 64, v243                               // 00000000F3D8: 69E7E6C0
	s_nop 0                                                    // 00000000F3DC: BF800000
	v_cndmask_b32_e64 v123, v66, v123, s[40:41]                // 00000000F3E0: D100007B 00A2F742
	v_cmp_le_u32_e64 s[40:41], v240, v64                       // 00000000F3E8: D0CB0028 000281F0
	v_add_u32_e32 v240, 64, v240                               // 00000000F3F0: 69E1E0C0
	s_nop 0                                                    // 00000000F3F4: BF800000
	v_cndmask_b32_e64 v124, v66, v124, s[40:41]                // 00000000F3F8: D100007C 00A2F942
	v_cmp_le_u32_e64 s[40:41], v241, v64                       // 00000000F400: D0CB0028 000281F1
	v_add_u32_e32 v241, 64, v241                               // 00000000F408: 69E3E2C0
	s_nop 0                                                    // 00000000F40C: BF800000
	v_cndmask_b32_e64 v125, v66, v125, s[40:41]                // 00000000F410: D100007D 00A2FB42
	v_cmp_le_u32_e64 s[40:41], v242, v64                       // 00000000F418: D0CB0028 000281F2
	v_add_u32_e32 v242, 64, v242                               // 00000000F420: 69E5E4C0
	s_nop 0                                                    // 00000000F424: BF800000
	v_cndmask_b32_e64 v126, v66, v126, s[40:41]                // 00000000F428: D100007E 00A2FD42
	v_cmp_le_u32_e64 s[40:41], v243, v64                       // 00000000F430: D0CB0028 000281F3
	v_add_u32_e32 v243, 64, v243                               // 00000000F438: 69E7E6C0
	s_nop 0                                                    // 00000000F43C: BF800000
	v_cndmask_b32_e64 v127, v66, v127, s[40:41]                // 00000000F440: D100007F 00A2FF42

000000000000f448 <label_3492>:
	s_and_b32 s60, s72, 0xff                                   // 00000000F448: 863CFF48 000000FF
	v_mov_b32_e32 v65, s60                                     // 00000000F450: 7E82023C
	v_lshrrev_b32_e32 v240, 4, v0                              // 00000000F454: 21E00084
	v_mul_i32_i24_e32 v240, 4, v240                            // 00000000F458: 0DE1E084
	s_mul_i32 s60, s7, 16                                      // 00000000F45C: 923C9007
	v_add_u32_e32 v240, s60, v240                              // 00000000F460: 69E1E03C
	v_add_u32_e32 v241, 1, v240                                // 00000000F464: 69E3E081
	v_add_u32_e32 v242, 2, v240                                // 00000000F468: 69E5E082
	v_add_u32_e32 v243, 3, v240                                // 00000000F46C: 69E7E083
	v_mov_b32_e32 v64, 0xff800000                              // 00000000F470: 7E8002FF FF800000
	v_cmp_lt_u32_e64 s[40:41], v240, v65                       // 00000000F478: D0C90028 000283F0
	v_add_u32_e32 v240, 64, v240                               // 00000000F480: 69E1E0C0
	s_nop 0                                                    // 00000000F484: BF800000
	v_cndmask_b32_e64 v112, v64, v112, s[40:41]                // 00000000F488: D1000070 00A2E140
	v_cmp_lt_u32_e64 s[40:41], v241, v65                       // 00000000F490: D0C90028 000283F1
	v_add_u32_e32 v241, 64, v241                               // 00000000F498: 69E3E2C0
	s_nop 0                                                    // 00000000F49C: BF800000
	v_cndmask_b32_e64 v113, v64, v113, s[40:41]                // 00000000F4A0: D1000071 00A2E340
	v_cmp_lt_u32_e64 s[40:41], v242, v65                       // 00000000F4A8: D0C90028 000283F2
	v_add_u32_e32 v242, 64, v242                               // 00000000F4B0: 69E5E4C0
	s_nop 0                                                    // 00000000F4B4: BF800000
	v_cndmask_b32_e64 v114, v64, v114, s[40:41]                // 00000000F4B8: D1000072 00A2E540
	v_cmp_lt_u32_e64 s[40:41], v243, v65                       // 00000000F4C0: D0C90028 000283F3
	v_add_u32_e32 v243, 64, v243                               // 00000000F4C8: 69E7E6C0
	s_nop 0                                                    // 00000000F4CC: BF800000
	v_cndmask_b32_e64 v115, v64, v115, s[40:41]                // 00000000F4D0: D1000073 00A2E740
	v_cmp_lt_u32_e64 s[40:41], v240, v65                       // 00000000F4D8: D0C90028 000283F0
	v_add_u32_e32 v240, 64, v240                               // 00000000F4E0: 69E1E0C0
	s_nop 0                                                    // 00000000F4E4: BF800000
	v_cndmask_b32_e64 v116, v64, v116, s[40:41]                // 00000000F4E8: D1000074 00A2E940
	v_cmp_lt_u32_e64 s[40:41], v241, v65                       // 00000000F4F0: D0C90028 000283F1
	v_add_u32_e32 v241, 64, v241                               // 00000000F4F8: 69E3E2C0
	s_nop 0                                                    // 00000000F4FC: BF800000
	v_cndmask_b32_e64 v117, v64, v117, s[40:41]                // 00000000F500: D1000075 00A2EB40
	v_cmp_lt_u32_e64 s[40:41], v242, v65                       // 00000000F508: D0C90028 000283F2
	v_add_u32_e32 v242, 64, v242                               // 00000000F510: 69E5E4C0
	s_nop 0                                                    // 00000000F514: BF800000
	v_cndmask_b32_e64 v118, v64, v118, s[40:41]                // 00000000F518: D1000076 00A2ED40
	v_cmp_lt_u32_e64 s[40:41], v243, v65                       // 00000000F520: D0C90028 000283F3
	v_add_u32_e32 v243, 64, v243                               // 00000000F528: 69E7E6C0
	s_nop 0                                                    // 00000000F52C: BF800000
	v_cndmask_b32_e64 v119, v64, v119, s[40:41]                // 00000000F530: D1000077 00A2EF40
	v_cmp_lt_u32_e64 s[40:41], v240, v65                       // 00000000F538: D0C90028 000283F0
	v_add_u32_e32 v240, 64, v240                               // 00000000F540: 69E1E0C0
	s_nop 0                                                    // 00000000F544: BF800000
	v_cndmask_b32_e64 v120, v64, v120, s[40:41]                // 00000000F548: D1000078 00A2F140
	v_cmp_lt_u32_e64 s[40:41], v241, v65                       // 00000000F550: D0C90028 000283F1
	v_add_u32_e32 v241, 64, v241                               // 00000000F558: 69E3E2C0
	s_nop 0                                                    // 00000000F55C: BF800000
	v_cndmask_b32_e64 v121, v64, v121, s[40:41]                // 00000000F560: D1000079 00A2F340
	v_cmp_lt_u32_e64 s[40:41], v242, v65                       // 00000000F568: D0C90028 000283F2
	v_add_u32_e32 v242, 64, v242                               // 00000000F570: 69E5E4C0
	s_nop 0                                                    // 00000000F574: BF800000
	v_cndmask_b32_e64 v122, v64, v122, s[40:41]                // 00000000F578: D100007A 00A2F540
	v_cmp_lt_u32_e64 s[40:41], v243, v65                       // 00000000F580: D0C90028 000283F3
	v_add_u32_e32 v243, 64, v243                               // 00000000F588: 69E7E6C0
	s_nop 0                                                    // 00000000F58C: BF800000
	v_cndmask_b32_e64 v123, v64, v123, s[40:41]                // 00000000F590: D100007B 00A2F740
	v_cmp_lt_u32_e64 s[40:41], v240, v65                       // 00000000F598: D0C90028 000283F0
	v_add_u32_e32 v240, 64, v240                               // 00000000F5A0: 69E1E0C0
	s_nop 0                                                    // 00000000F5A4: BF800000
	v_cndmask_b32_e64 v124, v64, v124, s[40:41]                // 00000000F5A8: D100007C 00A2F940
	v_cmp_lt_u32_e64 s[40:41], v241, v65                       // 00000000F5B0: D0C90028 000283F1
	v_add_u32_e32 v241, 64, v241                               // 00000000F5B8: 69E3E2C0
	s_nop 0                                                    // 00000000F5BC: BF800000
	v_cndmask_b32_e64 v125, v64, v125, s[40:41]                // 00000000F5C0: D100007D 00A2FB40
	v_cmp_lt_u32_e64 s[40:41], v242, v65                       // 00000000F5C8: D0C90028 000283F2
	v_add_u32_e32 v242, 64, v242                               // 00000000F5D0: 69E5E4C0
	s_nop 0                                                    // 00000000F5D4: BF800000
	v_cndmask_b32_e64 v126, v64, v126, s[40:41]                // 00000000F5D8: D100007E 00A2FD40
	v_cmp_lt_u32_e64 s[40:41], v243, v65                       // 00000000F5E0: D0C90028 000283F3
	v_add_u32_e32 v243, 64, v243                               // 00000000F5E8: 69E7E6C0
	s_nop 0                                                    // 00000000F5EC: BF800000
	v_cndmask_b32_e64 v127, v64, v127, s[40:41]                // 00000000F5F0: D100007F 00A2FF40
	v_mov_b32_e32 v48, v112                                    // 00000000F5F8: 7E600370
	v_max3_f32 v48, v112, v113, v48                            // 00000000F5FC: D1D30030 04C2E370
	v_max3_f32 v48, v114, v115, v48                            // 00000000F604: D1D30030 04C2E772
	v_max3_f32 v48, v116, v117, v48                            // 00000000F60C: D1D30030 04C2EB74
	v_max3_f32 v48, v118, v119, v48                            // 00000000F614: D1D30030 04C2EF76
	v_max3_f32 v48, v120, v121, v48                            // 00000000F61C: D1D30030 04C2F378
	v_max3_f32 v48, v122, v123, v48                            // 00000000F624: D1D30030 04C2F77A
	v_max3_f32 v48, v124, v125, v48                            // 00000000F62C: D1D30030 04C2FB7C
	v_max3_f32 v48, v126, v127, v48                            // 00000000F634: D1D30030 04C2FF7E
	ds_write_b32 v8, v48 offset:16896                          // 00000000F63C: D81A4200 00003008
	v_mul_u32_u24_dpp v64, v16, v54 row_newbcast:1 row_mask:0xf bank_mask:0xf// 00000000F644: 10806CFA FF015110
	v_mul_u32_u24_dpp v65, v16, v54 row_newbcast:5 row_mask:0xf bank_mask:0xf// 00000000F64C: 10826CFA FF015510
	v_mul_u32_u24_dpp v66, v16, v54 row_newbcast:9 row_mask:0xf bank_mask:0xf// 00000000F654: 10846CFA FF015910
	v_mul_u32_u24_dpp v67, v16, v54 row_newbcast:13 row_mask:0xf bank_mask:0xf// 00000000F65C: 10866CFA FF015D10
	v_add_u32_e32 v30, v64, v6                                 // 00000000F664: 683C0D40
	v_add_u32_e32 v31, v65, v6                                 // 00000000F668: 683E0D41
	v_add_u32_e32 v32, v66, v6                                 // 00000000F66C: 68400D42
	v_add_u32_e32 v33, v67, v6                                 // 00000000F670: 68420D43
	v_mul_f32_e32 v208, v49, v208                              // 00000000F674: 0BA1A131
	v_mul_f32_e32 v209, v49, v209                              // 00000000F678: 0BA3A331
	v_mul_f32_e32 v210, v49, v210                              // 00000000F67C: 0BA5A531
	v_mul_f32_e32 v211, v49, v211                              // 00000000F680: 0BA7A731
	v_mul_f32_e32 v212, v49, v212                              // 00000000F684: 0BA9A931
	v_mul_f32_e32 v213, v49, v213                              // 00000000F688: 0BABAB31
	v_mul_f32_e32 v214, v49, v214                              // 00000000F68C: 0BADAD31
	v_mul_f32_e32 v215, v49, v215                              // 00000000F690: 0BAFAF31
	s_waitcnt lgkmcnt(0)                                       // 00000000F694: BF8CC07F
	s_barrier                                                  // 00000000F698: BF8A0000
	ds_read_b32 v64, v7 offset:16896                           // 00000000F69C: D86C4200 40000007
	ds_read_b32 v65, v7 offset:16960                           // 00000000F6A4: D86C4240 41000007
	ds_read_b32 v66, v7 offset:17024                           // 00000000F6AC: D86C4280 42000007
	ds_read_b32 v67, v7 offset:17088                           // 00000000F6B4: D86C42C0 43000007
	ds_read_b32 v68, v7 offset:17152                           // 00000000F6BC: D86C4300 44000007
	ds_read_b32 v69, v7 offset:17216                           // 00000000F6C4: D86C4340 45000007
	ds_read_b32 v70, v7 offset:17280                           // 00000000F6CC: D86C4380 46000007
	ds_read_b32 v71, v7 offset:17344                           // 00000000F6D4: D86C43C0 47000007
	ds_read_b32 v72, v7 offset:17408                           // 00000000F6DC: D86C4400 48000007
	ds_read_b32 v73, v7 offset:17472                           // 00000000F6E4: D86C4440 49000007
	ds_read_b32 v74, v7 offset:17536                           // 00000000F6EC: D86C4480 4A000007
	ds_read_b32 v75, v7 offset:17600                           // 00000000F6F4: D86C44C0 4B000007
	ds_read_b32 v76, v7 offset:17664                           // 00000000F6FC: D86C4500 4C000007
	ds_read_b32 v77, v7 offset:17728                           // 00000000F704: D86C4540 4D000007
	ds_read_b32 v78, v7 offset:17792                           // 00000000F70C: D86C4580 4E000007
	ds_read_b32 v79, v7 offset:17856                           // 00000000F714: D86C45C0 4F000007
	v_cvt_f32_i32_e32 v176, v176                               // 00000000F71C: 7F600BB0
	v_cvt_f32_i32_e32 v177, v177                               // 00000000F720: 7F620BB1
	v_cvt_f32_i32_e32 v178, v178                               // 00000000F724: 7F640BB2
	v_cvt_f32_i32_e32 v179, v179                               // 00000000F728: 7F660BB3
	v_cvt_f32_i32_e32 v180, v180                               // 00000000F72C: 7F680BB4
	v_cvt_f32_i32_e32 v181, v181                               // 00000000F730: 7F6A0BB5
	v_cvt_f32_i32_e32 v182, v182                               // 00000000F734: 7F6C0BB6
	v_cvt_f32_i32_e32 v183, v183                               // 00000000F738: 7F6E0BB7
	v_mul_f32_e32 v176, v44, v176                              // 00000000F73C: 0B61612C
	v_mul_f32_e32 v177, v44, v177                              // 00000000F740: 0B63632C
	v_mul_f32_e32 v178, v44, v178                              // 00000000F744: 0B65652C
	v_mul_f32_e32 v179, v44, v179                              // 00000000F748: 0B67672C
	v_mul_f32_e32 v180, v44, v180                              // 00000000F74C: 0B69692C
	v_mul_f32_e32 v181, v44, v181                              // 00000000F750: 0B6B6B2C
	v_mul_f32_e32 v182, v44, v182                              // 00000000F754: 0B6D6D2C
	v_mul_f32_e32 v183, v44, v183                              // 00000000F758: 0B6F6F2C
	s_waitcnt lgkmcnt(0)                                       // 00000000F75C: BF8CC07F
	v_max3_f32 v48, v64, v65, v48                              // 00000000F760: D1D30030 04C28340
	v_max3_f32 v48, v66, v67, v48                              // 00000000F768: D1D30030 04C28742
	v_max3_f32 v48, v68, v69, v48                              // 00000000F770: D1D30030 04C28B44
	v_max3_f32 v48, v70, v71, v48                              // 00000000F778: D1D30030 04C28F46
	v_max3_f32 v48, v72, v73, v48                              // 00000000F780: D1D30030 04C29348
	v_max3_f32 v48, v74, v75, v48                              // 00000000F788: D1D30030 04C2974A
	v_max3_f32 v48, v76, v77, v48                              // 00000000F790: D1D30030 04C29B4C
	v_max3_f32 v48, v78, v79, v48                              // 00000000F798: D1D30030 04C29F4E
	v_mov_b32_e32 v64, 0xff800000                              // 00000000F7A0: 7E8002FF FF800000
	v_cmp_eq_u32_e64 s[40:41], v64, v11                        // 00000000F7A8: D0CA0028 00021740
	s_nop 1                                                    // 00000000F7B0: BF800001
	v_max_f32_e32 v15, v48, v11                                // 00000000F7B4: 161E1730
	v_mul_f32_e32 v53, s64, v15                                // 00000000F7B8: 0A6A1E40
	v_fma_f32 v112, v112, s64, -v53                            // 00000000F7BC: D1CB0070 84D48170
	v_fma_f32 v113, v113, s64, -v53                            // 00000000F7C4: D1CB0071 84D48171
	v_fma_f32 v114, v114, s64, -v53                            // 00000000F7CC: D1CB0072 84D48172
	v_fma_f32 v115, v115, s64, -v53                            // 00000000F7D4: D1CB0073 84D48173
	v_fma_f32 v116, v116, s64, -v53                            // 00000000F7DC: D1CB0074 84D48174
	v_fma_f32 v117, v117, s64, -v53                            // 00000000F7E4: D1CB0075 84D48175
	v_fma_f32 v118, v118, s64, -v53                            // 00000000F7EC: D1CB0076 84D48176
	v_fma_f32 v119, v119, s64, -v53                            // 00000000F7F4: D1CB0077 84D48177
	v_fma_f32 v120, v120, s64, -v53                            // 00000000F7FC: D1CB0078 84D48178
	v_fma_f32 v121, v121, s64, -v53                            // 00000000F804: D1CB0079 84D48179
	v_fma_f32 v122, v122, s64, -v53                            // 00000000F80C: D1CB007A 84D4817A
	v_fma_f32 v123, v123, s64, -v53                            // 00000000F814: D1CB007B 84D4817B
	v_fma_f32 v124, v124, s64, -v53                            // 00000000F81C: D1CB007C 84D4817C
	v_fma_f32 v125, v125, s64, -v53                            // 00000000F824: D1CB007D 84D4817D
	v_fma_f32 v126, v126, s64, -v53                            // 00000000F82C: D1CB007E 84D4817E
	v_fma_f32 v127, v127, s64, -v53                            // 00000000F834: D1CB007F 84D4817F
	v_exp_f32_e32 v112, v112                                   // 00000000F83C: 7EE04170
	v_exp_f32_e32 v113, v113                                   // 00000000F840: 7EE24171
	v_exp_f32_e32 v114, v114                                   // 00000000F844: 7EE44172
	v_exp_f32_e32 v115, v115                                   // 00000000F848: 7EE64173
	v_exp_f32_e32 v116, v116                                   // 00000000F84C: 7EE84174
	v_exp_f32_e32 v117, v117                                   // 00000000F850: 7EEA4175
	v_exp_f32_e32 v118, v118                                   // 00000000F854: 7EEC4176
	v_exp_f32_e32 v119, v119                                   // 00000000F858: 7EEE4177
	v_exp_f32_e32 v120, v120                                   // 00000000F85C: 7EF04178
	v_exp_f32_e32 v121, v121                                   // 00000000F860: 7EF24179
	v_exp_f32_e32 v122, v122                                   // 00000000F864: 7EF4417A
	v_exp_f32_e32 v123, v123                                   // 00000000F868: 7EF6417B
	v_exp_f32_e32 v124, v124                                   // 00000000F86C: 7EF8417C
	v_exp_f32_e32 v125, v125                                   // 00000000F870: 7EFA417D
	v_exp_f32_e32 v126, v126                                   // 00000000F874: 7EFC417E
	v_exp_f32_e32 v127, v127                                   // 00000000F878: 7EFE417F
	v_mul_f32_dpp v240, v252, v112 quad_perm:[0,0,0,0] row_mask:0xf bank_mask:0xf// 00000000F87C: 0BE0E0FA FF0000FC
	v_mul_f32_dpp v241, v252, v113 quad_perm:[1,1,1,1] row_mask:0xf bank_mask:0xf// 00000000F884: 0BE2E2FA FF0055FC
	v_mul_f32_dpp v242, v252, v114 quad_perm:[2,2,2,2] row_mask:0xf bank_mask:0xf// 00000000F88C: 0BE4E4FA FF00AAFC
	v_mul_f32_dpp v243, v252, v115 quad_perm:[3,3,3,3] row_mask:0xf bank_mask:0xf// 00000000F894: 0BE6E6FA FF00FFFC
	v_mul_f32_dpp v244, v253, v116 quad_perm:[0,0,0,0] row_mask:0xf bank_mask:0xf// 00000000F89C: 0BE8E8FA FF0000FD
	v_mul_f32_dpp v245, v253, v117 quad_perm:[1,1,1,1] row_mask:0xf bank_mask:0xf// 00000000F8A4: 0BEAEAFA FF0055FD
	v_mul_f32_dpp v246, v253, v118 quad_perm:[2,2,2,2] row_mask:0xf bank_mask:0xf// 00000000F8AC: 0BECECFA FF00AAFD
	v_mul_f32_dpp v247, v253, v119 quad_perm:[3,3,3,3] row_mask:0xf bank_mask:0xf// 00000000F8B4: 0BEEEEFA FF00FFFD
	v_mul_f32_dpp v248, v254, v120 quad_perm:[0,0,0,0] row_mask:0xf bank_mask:0xf// 00000000F8BC: 0BF0F0FA FF0000FE
	v_mul_f32_dpp v249, v254, v121 quad_perm:[1,1,1,1] row_mask:0xf bank_mask:0xf// 00000000F8C4: 0BF2F2FA FF0055FE
	v_mul_f32_dpp v250, v254, v122 quad_perm:[2,2,2,2] row_mask:0xf bank_mask:0xf// 00000000F8CC: 0BF4F4FA FF00AAFE
	v_mul_f32_dpp v251, v254, v123 quad_perm:[3,3,3,3] row_mask:0xf bank_mask:0xf// 00000000F8D4: 0BF6F6FA FF00FFFE
	v_mul_f32_dpp v252, v255, v124 quad_perm:[0,0,0,0] row_mask:0xf bank_mask:0xf// 00000000F8DC: 0BF8F8FA FF0000FF
	v_mul_f32_dpp v253, v255, v125 quad_perm:[1,1,1,1] row_mask:0xf bank_mask:0xf// 00000000F8E4: 0BFAFAFA FF0055FF
	v_mul_f32_dpp v254, v255, v126 quad_perm:[2,2,2,2] row_mask:0xf bank_mask:0xf// 00000000F8EC: 0BFCFCFA FF00AAFF
	v_mul_f32_dpp v255, v255, v127 quad_perm:[3,3,3,3] row_mask:0xf bank_mask:0xf// 00000000F8F4: 0BFEFEFA FF00FFFF
	v_mov_b32_e32 v48, 0x358637bd                              // 00000000F8FC: 7E6002FF 358637BD
	v_max3_f32 v48, |v240|, |v241|, v48                        // 00000000F904: D1D30330 04C3E3F0
	v_max3_f32 v48, |v242|, |v243|, v48                        // 00000000F90C: D1D30330 04C3E7F2
	v_max3_f32 v48, |v244|, |v245|, v48                        // 00000000F914: D1D30330 04C3EBF4
	v_max3_f32 v48, |v246|, |v247|, v48                        // 00000000F91C: D1D30330 04C3EFF6
	v_max3_f32 v48, |v248|, |v249|, v48                        // 00000000F924: D1D30330 04C3F3F8
	v_max3_f32 v48, |v250|, |v251|, v48                        // 00000000F92C: D1D30330 04C3F7FA
	v_max3_f32 v48, |v252|, |v253|, v48                        // 00000000F934: D1D30330 04C3FBFC
	v_max3_f32 v48, |v254|, |v255|, v48                        // 00000000F93C: D1D30330 04C3FFFE
	ds_write_b32 v8, v48 offset:20992                          // 00000000F944: D81A5200 00003008
	v_sub_f32_e32 v49, v11, v15                                // 00000000F94C: 04621F0B
	v_cndmask_b32_e64 v49, v49, 0, s[40:41]                    // 00000000F950: D1000031 00A10131
	v_mov_b32_e32 v11, v15                                     // 00000000F958: 7E16030F
	v_mul_f32_e32 v49, s64, v49                                // 00000000F95C: 0A626240
	v_exp_f32_e32 v49, v49                                     // 00000000F960: 7E624131
	s_waitcnt lgkmcnt(0)                                       // 00000000F964: BF8CC07F
	s_barrier                                                  // 00000000F968: BF8A0000
	ds_read_b32 v64, v7 offset:20992                           // 00000000F96C: D86C5200 40000007
	ds_read_b32 v65, v7 offset:21056                           // 00000000F974: D86C5240 41000007
	ds_read_b32 v66, v7 offset:21120                           // 00000000F97C: D86C5280 42000007
	ds_read_b32 v67, v7 offset:21184                           // 00000000F984: D86C52C0 43000007
	ds_read_b32 v68, v7 offset:21248                           // 00000000F98C: D86C5300 44000007
	ds_read_b32 v69, v7 offset:21312                           // 00000000F994: D86C5340 45000007
	ds_read_b32 v70, v7 offset:21376                           // 00000000F99C: D86C5380 46000007
	ds_read_b32 v71, v7 offset:21440                           // 00000000F9A4: D86C53C0 47000007
	ds_read_b32 v72, v7 offset:21504                           // 00000000F9AC: D86C5400 48000007
	ds_read_b32 v73, v7 offset:21568                           // 00000000F9B4: D86C5440 49000007
	ds_read_b32 v74, v7 offset:21632                           // 00000000F9BC: D86C5480 4A000007
	ds_read_b32 v75, v7 offset:21696                           // 00000000F9C4: D86C54C0 4B000007
	ds_read_b32 v76, v7 offset:21760                           // 00000000F9CC: D86C5500 4C000007
	ds_read_b32 v77, v7 offset:21824                           // 00000000F9D4: D86C5540 4D000007
	ds_read_b32 v78, v7 offset:21888                           // 00000000F9DC: D86C5580 4E000007
	ds_read_b32 v79, v7 offset:21952                           // 00000000F9E4: D86C55C0 4F000007
	v_mul_f32_e32 v38, v49, v38                                // 00000000F9EC: 0A4C4D31
	v_mov_b32_e32 v15, v112                                    // 00000000F9F0: 7E1E0370
	v_add_f32_e32 v15, v113, v15                               // 00000000F9F4: 021E1F71
	v_add_f32_e32 v15, v114, v15                               // 00000000F9F8: 021E1F72
	v_add_f32_e32 v15, v115, v15                               // 00000000F9FC: 021E1F73
	v_add_f32_e32 v15, v116, v15                               // 00000000FA00: 021E1F74
	v_add_f32_e32 v15, v117, v15                               // 00000000FA04: 021E1F75
	v_add_f32_e32 v15, v118, v15                               // 00000000FA08: 021E1F76
	v_add_f32_e32 v15, v119, v15                               // 00000000FA0C: 021E1F77
	v_add_f32_e32 v15, v120, v15                               // 00000000FA10: 021E1F78
	v_add_f32_e32 v15, v121, v15                               // 00000000FA14: 021E1F79
	v_add_f32_e32 v15, v122, v15                               // 00000000FA18: 021E1F7A
	v_add_f32_e32 v15, v123, v15                               // 00000000FA1C: 021E1F7B
	v_add_f32_e32 v15, v124, v15                               // 00000000FA20: 021E1F7C
	v_add_f32_e32 v15, v125, v15                               // 00000000FA24: 021E1F7D
	v_add_f32_e32 v15, v126, v15                               // 00000000FA28: 021E1F7E
	v_add_f32_e32 v15, v127, v15                               // 00000000FA2C: 021E1F7F
	v_add_f32_e32 v38, v15, v38                                // 00000000FA30: 024C4D0F
	s_waitcnt lgkmcnt(0)                                       // 00000000FA34: BF8CC07F
	v_max3_f32 v48, |v64|, |v65|, v48                          // 00000000FA38: D1D30330 04C28340
	v_max3_f32 v48, |v66|, |v67|, v48                          // 00000000FA40: D1D30330 04C28742
	v_max3_f32 v48, |v68|, |v69|, v48                          // 00000000FA48: D1D30330 04C28B44
	v_max3_f32 v48, |v70|, |v71|, v48                          // 00000000FA50: D1D30330 04C28F46
	v_max3_f32 v48, |v72|, |v73|, v48                          // 00000000FA58: D1D30330 04C29348
	v_max3_f32 v48, |v74|, |v75|, v48                          // 00000000FA60: D1D30330 04C2974A
	v_max3_f32 v48, |v76|, |v77|, v48                          // 00000000FA68: D1D30330 04C29B4C
	v_max3_f32 v48, |v78|, |v79|, v48                          // 00000000FA70: D1D30330 04C29F4E
	s_nop 2                                                    // 00000000FA78: BF800002
	v_rcp_f32_e32 v48, v48                                     // 00000000FA7C: 7E604530
	s_nop 1                                                    // 00000000FA80: BF800001
	v_mul_f32_e32 v48, 0x42fe0000, v48                         // 00000000FA84: 0A6060FF 42FE0000
	v_mul_f32_e32 v112, v48, v240                              // 00000000FA8C: 0AE1E130
	v_mul_f32_e32 v113, v48, v241                              // 00000000FA90: 0AE3E330
	v_mul_f32_e32 v114, v48, v242                              // 00000000FA94: 0AE5E530
	v_mul_f32_e32 v115, v48, v243                              // 00000000FA98: 0AE7E730
	v_mul_f32_e32 v116, v48, v244                              // 00000000FA9C: 0AE9E930
	v_mul_f32_e32 v117, v48, v245                              // 00000000FAA0: 0AEBEB30
	v_mul_f32_e32 v118, v48, v246                              // 00000000FAA4: 0AEDED30
	v_mul_f32_e32 v119, v48, v247                              // 00000000FAA8: 0AEFEF30
	v_mul_f32_e32 v120, v48, v248                              // 00000000FAAC: 0AF1F130
	v_mul_f32_e32 v121, v48, v249                              // 00000000FAB0: 0AF3F330
	v_mul_f32_e32 v122, v48, v250                              // 00000000FAB4: 0AF5F530
	v_mul_f32_e32 v123, v48, v251                              // 00000000FAB8: 0AF7F730
	v_mul_f32_e32 v124, v48, v252                              // 00000000FABC: 0AF9F930
	v_mul_f32_e32 v125, v48, v253                              // 00000000FAC0: 0AFBFB30
	v_mul_f32_e32 v126, v48, v254                              // 00000000FAC4: 0AFDFD30
	v_mul_f32_e32 v127, v48, v255                              // 00000000FAC8: 0AFFFF30
	v_cvt_i32_f32_e32 v112, v112                               // 00000000FACC: 7EE01170
	v_cvt_i32_f32_e32 v113, v113                               // 00000000FAD0: 7EE21171
	v_cvt_i32_f32_e32 v114, v114                               // 00000000FAD4: 7EE41172
	v_cvt_i32_f32_e32 v115, v115                               // 00000000FAD8: 7EE61173
	v_cvt_i32_f32_e32 v116, v116                               // 00000000FADC: 7EE81174
	v_cvt_i32_f32_e32 v117, v117                               // 00000000FAE0: 7EEA1175
	v_cvt_i32_f32_e32 v118, v118                               // 00000000FAE4: 7EEC1176
	v_cvt_i32_f32_e32 v119, v119                               // 00000000FAE8: 7EEE1177
	v_cvt_i32_f32_e32 v120, v120                               // 00000000FAEC: 7EF01178
	v_cvt_i32_f32_e32 v121, v121                               // 00000000FAF0: 7EF21179
	v_cvt_i32_f32_e32 v122, v122                               // 00000000FAF4: 7EF4117A
	v_cvt_i32_f32_e32 v123, v123                               // 00000000FAF8: 7EF6117B
	v_cvt_i32_f32_e32 v124, v124                               // 00000000FAFC: 7EF8117C
	v_cvt_i32_f32_e32 v125, v125                               // 00000000FB00: 7EFA117D
	v_cvt_i32_f32_e32 v126, v126                               // 00000000FB04: 7EFC117E
	v_cvt_i32_f32_e32 v127, v127                               // 00000000FB08: 7EFE117F
	v_perm_b32 v112, v113, v112, s53                           // 00000000FB0C: D1ED0070 00D6E171
	v_perm_b32 v112, v114, v112, s54                           // 00000000FB14: D1ED0070 00DAE172
	v_perm_b32 v112, v115, v112, s55                           // 00000000FB1C: D1ED0070 00DEE173
	v_perm_b32 v113, v117, v116, s53                           // 00000000FB24: D1ED0071 00D6E975
	v_perm_b32 v113, v118, v113, s54                           // 00000000FB2C: D1ED0071 00DAE376
	v_perm_b32 v113, v119, v113, s55                           // 00000000FB34: D1ED0071 00DEE377
	v_perm_b32 v114, v121, v120, s53                           // 00000000FB3C: D1ED0072 00D6F179
	v_perm_b32 v114, v122, v114, s54                           // 00000000FB44: D1ED0072 00DAE57A
	v_perm_b32 v114, v123, v114, s55                           // 00000000FB4C: D1ED0072 00DEE57B
	v_perm_b32 v115, v125, v124, s53                           // 00000000FB54: D1ED0073 00D6F97D
	v_perm_b32 v115, v126, v115, s54                           // 00000000FB5C: D1ED0073 00DAE77E
	v_perm_b32 v115, v127, v115, s55                           // 00000000FB64: D1ED0073 00DEE77F
	ds_write_b32 v10, v112 offset:25088                        // 00000000FB6C: D81A6200 0000700A
	ds_write_b32 v10, v113 offset:26112                        // 00000000FB74: D81A6600 0000710A
	ds_write_b32 v10, v114 offset:27136                        // 00000000FB7C: D81A6A00 0000720A
	ds_write_b32 v10, v115 offset:28160                        // 00000000FB84: D81A6E00 0000730A
	v_add_f32_e32 v208, v208, v176                             // 00000000FB8C: 03A161D0
	v_add_f32_e32 v209, v209, v177                             // 00000000FB90: 03A363D1
	v_add_f32_e32 v210, v210, v178                             // 00000000FB94: 03A565D2
	v_add_f32_e32 v211, v211, v179                             // 00000000FB98: 03A767D3
	v_add_f32_e32 v212, v212, v180                             // 00000000FB9C: 03A969D4
	v_add_f32_e32 v213, v213, v181                             // 00000000FBA0: 03AB6BD5
	v_add_f32_e32 v214, v214, v182                             // 00000000FBA4: 03AD6DD6
	v_add_f32_e32 v215, v215, v183                             // 00000000FBA8: 03AF6FD7
	v_rcp_f32_e32 v44, v48                                     // 00000000FBAC: 7E584530
	s_waitcnt lgkmcnt(0)                                       // 00000000FBB0: BF8CC07F
	s_barrier                                                  // 00000000FBB4: BF8A0000
	ds_read_b64 v[112:113], v9 offset:25088                    // 00000000FBB8: D8EC6200 70000009
	ds_read_b64 v[114:115], v9 offset:25216                    // 00000000FBC0: D8EC6280 72000009
	ds_read_b64 v[116:117], v9 offset:26112                    // 00000000FBC8: D8EC6600 74000009
	ds_read_b64 v[118:119], v9 offset:26240                    // 00000000FBD0: D8EC6680 76000009
	ds_read_b64 v[120:121], v9 offset:27136                    // 00000000FBD8: D8EC6A00 78000009
	ds_read_b64 v[122:123], v9 offset:27264                    // 00000000FBE0: D8EC6A80 7A000009
	ds_read_b64 v[124:125], v9 offset:28160                    // 00000000FBE8: D8EC6E00 7C000009
	ds_read_b64 v[126:127], v9 offset:28288                    // 00000000FBF0: D8EC6E80 7E000009
	v_mov_b32_dpp v64, v43 row_shr:4 row_mask:0xf bank_mask:0xf// 00000000FBF8: 7E8002FA FF01142B
	v_mov_b32_dpp v65, v43 row_shl:4 row_mask:0xf bank_mask:0xf// 00000000FC00: 7E8202FA FF01042B
	v_cndmask_b32_e64 v248, v43, v64, s[44:45]                 // 00000000FC08: D10000F8 00B2812B
	v_cndmask_b32_e64 v249, v65, v43, s[44:45]                 // 00000000FC10: D10000F9 00B25741
	v_mov_b32_dpp v64, v248 row_shr:8 row_mask:0xf bank_mask:0xf// 00000000FC18: 7E8002FA FF0118F8
	v_mov_b32_dpp v65, v248 row_shl:8 row_mask:0xf bank_mask:0xf// 00000000FC20: 7E8202FA FF0108F8
	v_mov_b32_dpp v66, v249 row_shr:8 row_mask:0xf bank_mask:0xf// 00000000FC28: 7E8402FA FF0118F9
	v_mov_b32_dpp v67, v249 row_shl:8 row_mask:0xf bank_mask:0xf// 00000000FC30: 7E8602FA FF0108F9
	v_mov_b32_e32 v68, v248                                    // 00000000FC38: 7E8803F8
	v_mov_b32_e32 v69, v249                                    // 00000000FC3C: 7E8A03F9
	v_cndmask_b32_e64 v248, v68, v64, s[42:43]                 // 00000000FC40: D10000F8 00AA8144
	v_cndmask_b32_e64 v250, v68, v65, s[78:79]                 // 00000000FC48: D10000FA 013A8344
	v_cndmask_b32_e64 v249, v69, v66, s[42:43]                 // 00000000FC50: D10000F9 00AA8545
	v_cndmask_b32_e64 v251, v69, v67, s[78:79]                 // 00000000FC58: D10000FB 013A8745
	v_mov_b32_dpp v64, v58 row_shr:4 row_mask:0xf bank_mask:0xf// 00000000FC60: 7E8002FA FF01143A
	v_mov_b32_dpp v65, v58 row_shl:4 row_mask:0xf bank_mask:0xf// 00000000FC68: 7E8202FA FF01043A
	v_cndmask_b32_e64 v252, v58, v64, s[44:45]                 // 00000000FC70: D10000FC 00B2813A
	v_cndmask_b32_e64 v253, v65, v58, s[44:45]                 // 00000000FC78: D10000FD 00B27541
	v_mov_b32_dpp v64, v252 row_shr:8 row_mask:0xf bank_mask:0xf// 00000000FC80: 7E8002FA FF0118FC
	v_mov_b32_dpp v65, v252 row_shl:8 row_mask:0xf bank_mask:0xf// 00000000FC88: 7E8202FA FF0108FC
	v_mov_b32_dpp v66, v253 row_shr:8 row_mask:0xf bank_mask:0xf// 00000000FC90: 7E8402FA FF0118FD
	v_mov_b32_dpp v67, v253 row_shl:8 row_mask:0xf bank_mask:0xf// 00000000FC98: 7E8602FA FF0108FD
	v_mov_b32_e32 v68, v252                                    // 00000000FCA0: 7E8803FC
	v_mov_b32_e32 v69, v253                                    // 00000000FCA4: 7E8A03FD
	v_cndmask_b32_e64 v252, v68, v64, s[42:43]                 // 00000000FCA8: D10000FC 00AA8144
	v_cndmask_b32_e64 v254, v68, v65, s[78:79]                 // 00000000FCB0: D10000FE 013A8344
	v_cndmask_b32_e64 v253, v69, v66, s[42:43]                 // 00000000FCB8: D10000FD 00AA8545
	v_cndmask_b32_e64 v255, v69, v67, s[78:79]                 // 00000000FCC0: D10000FF 013A8745
	v_cvt_f32_i32_e32 v128, v128                               // 00000000FCC8: 7F000B80
	v_cvt_f32_i32_e32 v129, v129                               // 00000000FCCC: 7F020B81
	v_cvt_f32_i32_e32 v130, v130                               // 00000000FCD0: 7F040B82
	v_cvt_f32_i32_e32 v131, v131                               // 00000000FCD4: 7F060B83
	v_cvt_f32_i32_e32 v132, v132                               // 00000000FCD8: 7F080B84
	v_cvt_f32_i32_e32 v133, v133                               // 00000000FCDC: 7F0A0B85
	v_cvt_f32_i32_e32 v134, v134                               // 00000000FCE0: 7F0C0B86
	v_cvt_f32_i32_e32 v135, v135                               // 00000000FCE4: 7F0E0B87
	v_cvt_f32_i32_e32 v136, v136                               // 00000000FCE8: 7F100B88
	v_cvt_f32_i32_e32 v137, v137                               // 00000000FCEC: 7F120B89
	v_cvt_f32_i32_e32 v138, v138                               // 00000000FCF0: 7F140B8A
	v_cvt_f32_i32_e32 v139, v139                               // 00000000FCF4: 7F160B8B
	v_cvt_f32_i32_e32 v140, v140                               // 00000000FCF8: 7F180B8C
	v_cvt_f32_i32_e32 v141, v141                               // 00000000FCFC: 7F1A0B8D
	v_cvt_f32_i32_e32 v142, v142                               // 00000000FD00: 7F1C0B8E
	v_cvt_f32_i32_e32 v143, v143                               // 00000000FD04: 7F1E0B8F
	v_mul_f32_e32 v128, v19, v128                              // 00000000FD08: 0B010113
	v_mul_f32_e32 v129, v19, v129                              // 00000000FD0C: 0B030313
	v_mul_f32_e32 v130, v19, v130                              // 00000000FD10: 0B050513
	v_mul_f32_e32 v131, v19, v131                              // 00000000FD14: 0B070713
	v_mul_f32_e32 v132, v19, v132                              // 00000000FD18: 0B090913
	v_mul_f32_e32 v133, v19, v133                              // 00000000FD1C: 0B0B0B13
	v_mul_f32_e32 v134, v19, v134                              // 00000000FD20: 0B0D0D13
	v_mul_f32_e32 v135, v19, v135                              // 00000000FD24: 0B0F0F13
	v_mul_f32_e32 v136, v19, v136                              // 00000000FD28: 0B111113
	v_mul_f32_e32 v137, v19, v137                              // 00000000FD2C: 0B131313
	v_mul_f32_e32 v138, v19, v138                              // 00000000FD30: 0B151513
	v_mul_f32_e32 v139, v19, v139                              // 00000000FD34: 0B171713
	v_mul_f32_e32 v140, v19, v140                              // 00000000FD38: 0B191913
	v_mul_f32_e32 v141, v19, v141                              // 00000000FD3C: 0B1B1B13
	v_mul_f32_e32 v142, v19, v142                              // 00000000FD40: 0B1D1D13
	v_mul_f32_e32 v143, v19, v143                              // 00000000FD44: 0B1F1F13
	v_mul_f32_dpp v128, v248, v128 quad_perm:[0,0,0,0] row_mask:0xf bank_mask:0xf// 00000000FD48: 0B0100FA FF0000F8
	v_mul_f32_dpp v129, v248, v129 quad_perm:[1,1,1,1] row_mask:0xf bank_mask:0xf// 00000000FD50: 0B0302FA FF0055F8
	v_mul_f32_dpp v130, v248, v130 quad_perm:[2,2,2,2] row_mask:0xf bank_mask:0xf// 00000000FD58: 0B0504FA FF00AAF8
	v_mul_f32_dpp v131, v248, v131 quad_perm:[3,3,3,3] row_mask:0xf bank_mask:0xf// 00000000FD60: 0B0706FA FF00FFF8
	v_mul_f32_dpp v132, v249, v132 quad_perm:[0,0,0,0] row_mask:0xf bank_mask:0xf// 00000000FD68: 0B0908FA FF0000F9
	v_mul_f32_dpp v133, v249, v133 quad_perm:[1,1,1,1] row_mask:0xf bank_mask:0xf// 00000000FD70: 0B0B0AFA FF0055F9
	v_mul_f32_dpp v134, v249, v134 quad_perm:[2,2,2,2] row_mask:0xf bank_mask:0xf// 00000000FD78: 0B0D0CFA FF00AAF9
	v_mul_f32_dpp v135, v249, v135 quad_perm:[3,3,3,3] row_mask:0xf bank_mask:0xf// 00000000FD80: 0B0F0EFA FF00FFF9
	v_mul_f32_dpp v136, v250, v136 quad_perm:[0,0,0,0] row_mask:0xf bank_mask:0xf// 00000000FD88: 0B1110FA FF0000FA
	v_mul_f32_dpp v137, v250, v137 quad_perm:[1,1,1,1] row_mask:0xf bank_mask:0xf// 00000000FD90: 0B1312FA FF0055FA
	v_mul_f32_dpp v138, v250, v138 quad_perm:[2,2,2,2] row_mask:0xf bank_mask:0xf// 00000000FD98: 0B1514FA FF00AAFA
	v_mul_f32_dpp v139, v250, v139 quad_perm:[3,3,3,3] row_mask:0xf bank_mask:0xf// 00000000FDA0: 0B1716FA FF00FFFA
	v_mul_f32_dpp v140, v251, v140 quad_perm:[0,0,0,0] row_mask:0xf bank_mask:0xf// 00000000FDA8: 0B1918FA FF0000FB
	v_mul_f32_dpp v141, v251, v141 quad_perm:[1,1,1,1] row_mask:0xf bank_mask:0xf// 00000000FDB0: 0B1B1AFA FF0055FB
	v_mul_f32_dpp v142, v251, v142 quad_perm:[2,2,2,2] row_mask:0xf bank_mask:0xf// 00000000FDB8: 0B1D1CFA FF00AAFB
	v_mul_f32_dpp v143, v251, v143 quad_perm:[3,3,3,3] row_mask:0xf bank_mask:0xf// 00000000FDC0: 0B1F1EFA FF00FFFB
	s_cmp_le_i32 s90, s89                                      // 00000000FDC8: BF05595A
	s_cbranch_scc1 label_3765                                  // 00000000FDCC: BF850071
	v_mov_b32_e32 v66, 0xff800000                              // 00000000FDD0: 7E8402FF FF800000
	s_mov_b32 s60, s90                                         // 00000000FDD8: BEBC005A
	s_add_u32 s61, s89, 0xff                                   // 00000000FDDC: 803DFF59 000000FF
	v_mov_b32_e32 v64, s61                                     // 00000000FDE4: 7E80023D
	v_lshrrev_b32_e32 v240, 4, v0                              // 00000000FDE8: 21E00084
	v_mul_i32_i24_e32 v240, 4, v240                            // 00000000FDEC: 0DE1E084
	v_add_u32_e32 v240, s60, v240                              // 00000000FDF0: 69E1E03C
	s_mov_b32 s61, 1                                           // 00000000FDF4: BEBD0081
	s_mul_i32 s60, 16, s7                                      // 00000000FDF8: 923C0790
	v_sub_u32_e64 v240, v240, s61                              // 00000000FDFC: D13500F0 00007BF0
	v_add_u32_e32 v240, s60, v240                              // 00000000FE04: 69E1E03C
	v_add_u32_e32 v241, 1, v240                                // 00000000FE08: 69E3E081
	v_add_u32_e32 v242, 2, v240                                // 00000000FE0C: 69E5E082
	v_add_u32_e32 v243, 3, v240                                // 00000000FE10: 69E7E083
	v_cmp_le_u32_e64 s[40:41], v240, v64                       // 00000000FE14: D0CB0028 000281F0
	v_add_u32_e32 v240, 64, v240                               // 00000000FE1C: 69E1E0C0
	s_nop 0                                                    // 00000000FE20: BF800000
	v_cndmask_b32_e64 v128, v66, v128, s[40:41]                // 00000000FE24: D1000080 00A30142
	v_cmp_le_u32_e64 s[40:41], v241, v64                       // 00000000FE2C: D0CB0028 000281F1
	v_add_u32_e32 v241, 64, v241                               // 00000000FE34: 69E3E2C0
	s_nop 0                                                    // 00000000FE38: BF800000
	v_cndmask_b32_e64 v129, v66, v129, s[40:41]                // 00000000FE3C: D1000081 00A30342
	v_cmp_le_u32_e64 s[40:41], v242, v64                       // 00000000FE44: D0CB0028 000281F2
	v_add_u32_e32 v242, 64, v242                               // 00000000FE4C: 69E5E4C0
	s_nop 0                                                    // 00000000FE50: BF800000
	v_cndmask_b32_e64 v130, v66, v130, s[40:41]                // 00000000FE54: D1000082 00A30542
	v_cmp_le_u32_e64 s[40:41], v243, v64                       // 00000000FE5C: D0CB0028 000281F3
	v_add_u32_e32 v243, 64, v243                               // 00000000FE64: 69E7E6C0
	s_nop 0                                                    // 00000000FE68: BF800000
	v_cndmask_b32_e64 v131, v66, v131, s[40:41]                // 00000000FE6C: D1000083 00A30742
	v_cmp_le_u32_e64 s[40:41], v240, v64                       // 00000000FE74: D0CB0028 000281F0
	v_add_u32_e32 v240, 64, v240                               // 00000000FE7C: 69E1E0C0
	s_nop 0                                                    // 00000000FE80: BF800000
	v_cndmask_b32_e64 v132, v66, v132, s[40:41]                // 00000000FE84: D1000084 00A30942
	v_cmp_le_u32_e64 s[40:41], v241, v64                       // 00000000FE8C: D0CB0028 000281F1
	v_add_u32_e32 v241, 64, v241                               // 00000000FE94: 69E3E2C0
	s_nop 0                                                    // 00000000FE98: BF800000
	v_cndmask_b32_e64 v133, v66, v133, s[40:41]                // 00000000FE9C: D1000085 00A30B42
	v_cmp_le_u32_e64 s[40:41], v242, v64                       // 00000000FEA4: D0CB0028 000281F2
	v_add_u32_e32 v242, 64, v242                               // 00000000FEAC: 69E5E4C0
	s_nop 0                                                    // 00000000FEB0: BF800000
	v_cndmask_b32_e64 v134, v66, v134, s[40:41]                // 00000000FEB4: D1000086 00A30D42
	v_cmp_le_u32_e64 s[40:41], v243, v64                       // 00000000FEBC: D0CB0028 000281F3
	v_add_u32_e32 v243, 64, v243                               // 00000000FEC4: 69E7E6C0
	s_nop 0                                                    // 00000000FEC8: BF800000
	v_cndmask_b32_e64 v135, v66, v135, s[40:41]                // 00000000FECC: D1000087 00A30F42
	v_cmp_le_u32_e64 s[40:41], v240, v64                       // 00000000FED4: D0CB0028 000281F0
	v_add_u32_e32 v240, 64, v240                               // 00000000FEDC: 69E1E0C0
	s_nop 0                                                    // 00000000FEE0: BF800000
	v_cndmask_b32_e64 v136, v66, v136, s[40:41]                // 00000000FEE4: D1000088 00A31142
	v_cmp_le_u32_e64 s[40:41], v241, v64                       // 00000000FEEC: D0CB0028 000281F1
	v_add_u32_e32 v241, 64, v241                               // 00000000FEF4: 69E3E2C0
	s_nop 0                                                    // 00000000FEF8: BF800000
	v_cndmask_b32_e64 v137, v66, v137, s[40:41]                // 00000000FEFC: D1000089 00A31342
	v_cmp_le_u32_e64 s[40:41], v242, v64                       // 00000000FF04: D0CB0028 000281F2
	v_add_u32_e32 v242, 64, v242                               // 00000000FF0C: 69E5E4C0
	s_nop 0                                                    // 00000000FF10: BF800000
	v_cndmask_b32_e64 v138, v66, v138, s[40:41]                // 00000000FF14: D100008A 00A31542
	v_cmp_le_u32_e64 s[40:41], v243, v64                       // 00000000FF1C: D0CB0028 000281F3
	v_add_u32_e32 v243, 64, v243                               // 00000000FF24: 69E7E6C0
	s_nop 0                                                    // 00000000FF28: BF800000
	v_cndmask_b32_e64 v139, v66, v139, s[40:41]                // 00000000FF2C: D100008B 00A31742
	v_cmp_le_u32_e64 s[40:41], v240, v64                       // 00000000FF34: D0CB0028 000281F0
	v_add_u32_e32 v240, 64, v240                               // 00000000FF3C: 69E1E0C0
	s_nop 0                                                    // 00000000FF40: BF800000
	v_cndmask_b32_e64 v140, v66, v140, s[40:41]                // 00000000FF44: D100008C 00A31942
	v_cmp_le_u32_e64 s[40:41], v241, v64                       // 00000000FF4C: D0CB0028 000281F1
	v_add_u32_e32 v241, 64, v241                               // 00000000FF54: 69E3E2C0
	s_nop 0                                                    // 00000000FF58: BF800000
	v_cndmask_b32_e64 v141, v66, v141, s[40:41]                // 00000000FF5C: D100008D 00A31B42
	v_cmp_le_u32_e64 s[40:41], v242, v64                       // 00000000FF64: D0CB0028 000281F2
	v_add_u32_e32 v242, 64, v242                               // 00000000FF6C: 69E5E4C0
	s_nop 0                                                    // 00000000FF70: BF800000
	v_cndmask_b32_e64 v142, v66, v142, s[40:41]                // 00000000FF74: D100008E 00A31D42
	v_cmp_le_u32_e64 s[40:41], v243, v64                       // 00000000FF7C: D0CB0028 000281F3
	v_add_u32_e32 v243, 64, v243                               // 00000000FF84: 69E7E6C0
	s_nop 0                                                    // 00000000FF88: BF800000
	v_cndmask_b32_e64 v143, v66, v143, s[40:41]                // 00000000FF8C: D100008F 00A31F42

000000000000ff94 <label_3765>:
	s_add_u32 s90, s91, s90                                    // 00000000FF94: 805A5A5B
	s_and_b32 s60, s72, 0xff                                   // 00000000FF98: 863CFF48 000000FF
	v_mov_b32_e32 v65, s60                                     // 00000000FFA0: 7E82023C
	v_lshrrev_b32_e32 v240, 4, v0                              // 00000000FFA4: 21E00084
	v_mul_i32_i24_e32 v240, 4, v240                            // 00000000FFA8: 0DE1E084
	s_mul_i32 s60, s7, 16                                      // 00000000FFAC: 923C9007
	v_add_u32_e32 v240, s60, v240                              // 00000000FFB0: 69E1E03C
	v_add_u32_e32 v241, 1, v240                                // 00000000FFB4: 69E3E081
	v_add_u32_e32 v242, 2, v240                                // 00000000FFB8: 69E5E082
	v_add_u32_e32 v243, 3, v240                                // 00000000FFBC: 69E7E083
	v_mov_b32_e32 v64, 0xff800000                              // 00000000FFC0: 7E8002FF FF800000
	v_cmp_lt_u32_e64 s[40:41], v240, v65                       // 00000000FFC8: D0C90028 000283F0
	v_add_u32_e32 v240, 64, v240                               // 00000000FFD0: 69E1E0C0
	s_nop 0                                                    // 00000000FFD4: BF800000
	v_cndmask_b32_e64 v128, v64, v128, s[40:41]                // 00000000FFD8: D1000080 00A30140
	v_cmp_lt_u32_e64 s[40:41], v241, v65                       // 00000000FFE0: D0C90028 000283F1
	v_add_u32_e32 v241, 64, v241                               // 00000000FFE8: 69E3E2C0
	s_nop 0                                                    // 00000000FFEC: BF800000
	v_cndmask_b32_e64 v129, v64, v129, s[40:41]                // 00000000FFF0: D1000081 00A30340
	v_cmp_lt_u32_e64 s[40:41], v242, v65                       // 00000000FFF8: D0C90028 000283F2
	v_add_u32_e32 v242, 64, v242                               // 000000010000: 69E5E4C0
	s_nop 0                                                    // 000000010004: BF800000
	v_cndmask_b32_e64 v130, v64, v130, s[40:41]                // 000000010008: D1000082 00A30540
	v_cmp_lt_u32_e64 s[40:41], v243, v65                       // 000000010010: D0C90028 000283F3
	v_add_u32_e32 v243, 64, v243                               // 000000010018: 69E7E6C0
	s_nop 0                                                    // 00000001001C: BF800000
	v_cndmask_b32_e64 v131, v64, v131, s[40:41]                // 000000010020: D1000083 00A30740
	v_cmp_lt_u32_e64 s[40:41], v240, v65                       // 000000010028: D0C90028 000283F0
	v_add_u32_e32 v240, 64, v240                               // 000000010030: 69E1E0C0
	s_nop 0                                                    // 000000010034: BF800000
	v_cndmask_b32_e64 v132, v64, v132, s[40:41]                // 000000010038: D1000084 00A30940
	v_cmp_lt_u32_e64 s[40:41], v241, v65                       // 000000010040: D0C90028 000283F1
	v_add_u32_e32 v241, 64, v241                               // 000000010048: 69E3E2C0
	s_nop 0                                                    // 00000001004C: BF800000
	v_cndmask_b32_e64 v133, v64, v133, s[40:41]                // 000000010050: D1000085 00A30B40
	v_cmp_lt_u32_e64 s[40:41], v242, v65                       // 000000010058: D0C90028 000283F2
	v_add_u32_e32 v242, 64, v242                               // 000000010060: 69E5E4C0
	s_nop 0                                                    // 000000010064: BF800000
	v_cndmask_b32_e64 v134, v64, v134, s[40:41]                // 000000010068: D1000086 00A30D40
	v_cmp_lt_u32_e64 s[40:41], v243, v65                       // 000000010070: D0C90028 000283F3
	v_add_u32_e32 v243, 64, v243                               // 000000010078: 69E7E6C0
	s_nop 0                                                    // 00000001007C: BF800000
	v_cndmask_b32_e64 v135, v64, v135, s[40:41]                // 000000010080: D1000087 00A30F40
	v_cmp_lt_u32_e64 s[40:41], v240, v65                       // 000000010088: D0C90028 000283F0
	v_add_u32_e32 v240, 64, v240                               // 000000010090: 69E1E0C0
	s_nop 0                                                    // 000000010094: BF800000
	v_cndmask_b32_e64 v136, v64, v136, s[40:41]                // 000000010098: D1000088 00A31140
	v_cmp_lt_u32_e64 s[40:41], v241, v65                       // 0000000100A0: D0C90028 000283F1
	v_add_u32_e32 v241, 64, v241                               // 0000000100A8: 69E3E2C0
	s_nop 0                                                    // 0000000100AC: BF800000
	v_cndmask_b32_e64 v137, v64, v137, s[40:41]                // 0000000100B0: D1000089 00A31340
	v_cmp_lt_u32_e64 s[40:41], v242, v65                       // 0000000100B8: D0C90028 000283F2
	v_add_u32_e32 v242, 64, v242                               // 0000000100C0: 69E5E4C0
	s_nop 0                                                    // 0000000100C4: BF800000
	v_cndmask_b32_e64 v138, v64, v138, s[40:41]                // 0000000100C8: D100008A 00A31540
	v_cmp_lt_u32_e64 s[40:41], v243, v65                       // 0000000100D0: D0C90028 000283F3
	v_add_u32_e32 v243, 64, v243                               // 0000000100D8: 69E7E6C0
	s_nop 0                                                    // 0000000100DC: BF800000
	v_cndmask_b32_e64 v139, v64, v139, s[40:41]                // 0000000100E0: D100008B 00A31740
	v_cmp_lt_u32_e64 s[40:41], v240, v65                       // 0000000100E8: D0C90028 000283F0
	v_add_u32_e32 v240, 64, v240                               // 0000000100F0: 69E1E0C0
	s_nop 0                                                    // 0000000100F4: BF800000
	v_cndmask_b32_e64 v140, v64, v140, s[40:41]                // 0000000100F8: D100008C 00A31940
	v_cmp_lt_u32_e64 s[40:41], v241, v65                       // 000000010100: D0C90028 000283F1
	v_add_u32_e32 v241, 64, v241                               // 000000010108: 69E3E2C0
	s_nop 0                                                    // 00000001010C: BF800000
	v_cndmask_b32_e64 v141, v64, v141, s[40:41]                // 000000010110: D100008D 00A31B40
	v_cmp_lt_u32_e64 s[40:41], v242, v65                       // 000000010118: D0C90028 000283F2
	v_add_u32_e32 v242, 64, v242                               // 000000010120: 69E5E4C0
	s_nop 0                                                    // 000000010124: BF800000
	v_cndmask_b32_e64 v142, v64, v142, s[40:41]                // 000000010128: D100008E 00A31D40
	v_cmp_lt_u32_e64 s[40:41], v243, v65                       // 000000010130: D0C90028 000283F3
	v_add_u32_e32 v243, 64, v243                               // 000000010138: 69E7E6C0
	s_nop 0                                                    // 00000001013C: BF800000
	v_cndmask_b32_e64 v143, v64, v143, s[40:41]                // 000000010140: D100008F 00A31F40
	v_mov_b32_e32 v48, v128                                    // 000000010148: 7E600380
	v_max3_f32 v48, v128, v129, v48                            // 00000001014C: D1D30030 04C30380
	v_max3_f32 v48, v130, v131, v48                            // 000000010154: D1D30030 04C30782
	v_max3_f32 v48, v132, v133, v48                            // 00000001015C: D1D30030 04C30B84
	v_max3_f32 v48, v134, v135, v48                            // 000000010164: D1D30030 04C30F86
	v_max3_f32 v48, v136, v137, v48                            // 00000001016C: D1D30030 04C31388
	v_max3_f32 v48, v138, v139, v48                            // 000000010174: D1D30030 04C3178A
	v_max3_f32 v48, v140, v141, v48                            // 00000001017C: D1D30030 04C31B8C
	v_max3_f32 v48, v142, v143, v48                            // 000000010184: D1D30030 04C31F8E
	ds_write_b32 v8, v48 offset:16896                          // 00000001018C: D81A4200 00003008
	v_mul_f32_e32 v216, v50, v216                              // 000000010194: 0BB1B132
	v_mul_f32_e32 v217, v50, v217                              // 000000010198: 0BB3B332
	v_mul_f32_e32 v218, v50, v218                              // 00000001019C: 0BB5B532
	v_mul_f32_e32 v219, v50, v219                              // 0000000101A0: 0BB7B732
	v_mul_f32_e32 v220, v50, v220                              // 0000000101A4: 0BB9B932
	v_mul_f32_e32 v221, v50, v221                              // 0000000101A8: 0BBBBB32
	v_mul_f32_e32 v222, v50, v222                              // 0000000101AC: 0BBDBD32
	v_mul_f32_e32 v223, v50, v223                              // 0000000101B0: 0BBFBF32
	s_waitcnt lgkmcnt(0)                                       // 0000000101B4: BF8CC07F
	s_barrier                                                  // 0000000101B8: BF8A0000
	ds_read_b32 v64, v7 offset:16896                           // 0000000101BC: D86C4200 40000007
	ds_read_b32 v65, v7 offset:16960                           // 0000000101C4: D86C4240 41000007
	ds_read_b32 v66, v7 offset:17024                           // 0000000101CC: D86C4280 42000007
	ds_read_b32 v67, v7 offset:17088                           // 0000000101D4: D86C42C0 43000007
	ds_read_b32 v68, v7 offset:17152                           // 0000000101DC: D86C4300 44000007
	ds_read_b32 v69, v7 offset:17216                           // 0000000101E4: D86C4340 45000007
	ds_read_b32 v70, v7 offset:17280                           // 0000000101EC: D86C4380 46000007
	ds_read_b32 v71, v7 offset:17344                           // 0000000101F4: D86C43C0 47000007
	ds_read_b32 v72, v7 offset:17408                           // 0000000101FC: D86C4400 48000007
	ds_read_b32 v73, v7 offset:17472                           // 000000010204: D86C4440 49000007
	ds_read_b32 v74, v7 offset:17536                           // 00000001020C: D86C4480 4A000007
	ds_read_b32 v75, v7 offset:17600                           // 000000010214: D86C44C0 4B000007
	ds_read_b32 v76, v7 offset:17664                           // 00000001021C: D86C4500 4C000007
	ds_read_b32 v77, v7 offset:17728                           // 000000010224: D86C4540 4D000007
	ds_read_b32 v78, v7 offset:17792                           // 00000001022C: D86C4580 4E000007
	ds_read_b32 v79, v7 offset:17856                           // 000000010234: D86C45C0 4F000007
	v_cvt_f32_i32_e32 v184, v184                               // 00000001023C: 7F700BB8
	v_cvt_f32_i32_e32 v185, v185                               // 000000010240: 7F720BB9
	v_cvt_f32_i32_e32 v186, v186                               // 000000010244: 7F740BBA
	v_cvt_f32_i32_e32 v187, v187                               // 000000010248: 7F760BBB
	v_cvt_f32_i32_e32 v188, v188                               // 00000001024C: 7F780BBC
	v_cvt_f32_i32_e32 v189, v189                               // 000000010250: 7F7A0BBD
	v_cvt_f32_i32_e32 v190, v190                               // 000000010254: 7F7C0BBE
	v_cvt_f32_i32_e32 v191, v191                               // 000000010258: 7F7E0BBF
	v_mul_f32_e32 v184, v45, v184                              // 00000001025C: 0B71712D
	v_mul_f32_e32 v185, v45, v185                              // 000000010260: 0B73732D
	v_mul_f32_e32 v186, v45, v186                              // 000000010264: 0B75752D
	v_mul_f32_e32 v187, v45, v187                              // 000000010268: 0B77772D
	v_mul_f32_e32 v188, v45, v188                              // 00000001026C: 0B79792D
	v_mul_f32_e32 v189, v45, v189                              // 000000010270: 0B7B7B2D
	v_mul_f32_e32 v190, v45, v190                              // 000000010274: 0B7D7D2D
	v_mul_f32_e32 v191, v45, v191                              // 000000010278: 0B7F7F2D
	s_waitcnt lgkmcnt(0)                                       // 00000001027C: BF8CC07F
	v_max3_f32 v48, v64, v65, v48                              // 000000010280: D1D30030 04C28340
	v_max3_f32 v48, v66, v67, v48                              // 000000010288: D1D30030 04C28742
	v_max3_f32 v48, v68, v69, v48                              // 000000010290: D1D30030 04C28B44
	v_max3_f32 v48, v70, v71, v48                              // 000000010298: D1D30030 04C28F46
	v_max3_f32 v48, v72, v73, v48                              // 0000000102A0: D1D30030 04C29348
	v_max3_f32 v48, v74, v75, v48                              // 0000000102A8: D1D30030 04C2974A
	v_max3_f32 v48, v76, v77, v48                              // 0000000102B0: D1D30030 04C29B4C
	v_max3_f32 v48, v78, v79, v48                              // 0000000102B8: D1D30030 04C29F4E
	v_mov_b32_e32 v64, 0xff800000                              // 0000000102C0: 7E8002FF FF800000
	v_cmp_eq_u32_e64 s[40:41], v64, v12                        // 0000000102C8: D0CA0028 00021940
	s_nop 1                                                    // 0000000102D0: BF800001
	v_max_f32_e32 v15, v48, v12                                // 0000000102D4: 161E1930
	v_mul_f32_e32 v53, s64, v15                                // 0000000102D8: 0A6A1E40
	v_fma_f32 v128, v128, s64, -v53                            // 0000000102DC: D1CB0080 84D48180
	v_fma_f32 v129, v129, s64, -v53                            // 0000000102E4: D1CB0081 84D48181
	v_fma_f32 v130, v130, s64, -v53                            // 0000000102EC: D1CB0082 84D48182
	v_fma_f32 v131, v131, s64, -v53                            // 0000000102F4: D1CB0083 84D48183
	v_fma_f32 v132, v132, s64, -v53                            // 0000000102FC: D1CB0084 84D48184
	v_fma_f32 v133, v133, s64, -v53                            // 000000010304: D1CB0085 84D48185
	v_fma_f32 v134, v134, s64, -v53                            // 00000001030C: D1CB0086 84D48186
	v_fma_f32 v135, v135, s64, -v53                            // 000000010314: D1CB0087 84D48187
	v_fma_f32 v136, v136, s64, -v53                            // 00000001031C: D1CB0088 84D48188
	v_fma_f32 v137, v137, s64, -v53                            // 000000010324: D1CB0089 84D48189
	v_fma_f32 v138, v138, s64, -v53                            // 00000001032C: D1CB008A 84D4818A
	v_fma_f32 v139, v139, s64, -v53                            // 000000010334: D1CB008B 84D4818B
	v_fma_f32 v140, v140, s64, -v53                            // 00000001033C: D1CB008C 84D4818C
	v_fma_f32 v141, v141, s64, -v53                            // 000000010344: D1CB008D 84D4818D
	v_fma_f32 v142, v142, s64, -v53                            // 00000001034C: D1CB008E 84D4818E
	v_fma_f32 v143, v143, s64, -v53                            // 000000010354: D1CB008F 84D4818F
	v_exp_f32_e32 v128, v128                                   // 00000001035C: 7F004180
	v_exp_f32_e32 v129, v129                                   // 000000010360: 7F024181
	v_exp_f32_e32 v130, v130                                   // 000000010364: 7F044182
	v_exp_f32_e32 v131, v131                                   // 000000010368: 7F064183
	v_exp_f32_e32 v132, v132                                   // 00000001036C: 7F084184
	v_exp_f32_e32 v133, v133                                   // 000000010370: 7F0A4185
	v_exp_f32_e32 v134, v134                                   // 000000010374: 7F0C4186
	v_exp_f32_e32 v135, v135                                   // 000000010378: 7F0E4187
	v_exp_f32_e32 v136, v136                                   // 00000001037C: 7F104188
	v_exp_f32_e32 v137, v137                                   // 000000010380: 7F124189
	v_exp_f32_e32 v138, v138                                   // 000000010384: 7F14418A
	v_exp_f32_e32 v139, v139                                   // 000000010388: 7F16418B
	v_exp_f32_e32 v140, v140                                   // 00000001038C: 7F18418C
	v_exp_f32_e32 v141, v141                                   // 000000010390: 7F1A418D
	v_exp_f32_e32 v142, v142                                   // 000000010394: 7F1C418E
	v_exp_f32_e32 v143, v143                                   // 000000010398: 7F1E418F
	v_mul_f32_dpp v240, v252, v128 quad_perm:[0,0,0,0] row_mask:0xf bank_mask:0xf// 00000001039C: 0BE100FA FF0000FC
	v_mul_f32_dpp v241, v252, v129 quad_perm:[1,1,1,1] row_mask:0xf bank_mask:0xf// 0000000103A4: 0BE302FA FF0055FC
	v_mul_f32_dpp v242, v252, v130 quad_perm:[2,2,2,2] row_mask:0xf bank_mask:0xf// 0000000103AC: 0BE504FA FF00AAFC
	v_mul_f32_dpp v243, v252, v131 quad_perm:[3,3,3,3] row_mask:0xf bank_mask:0xf// 0000000103B4: 0BE706FA FF00FFFC
	v_mul_f32_dpp v244, v253, v132 quad_perm:[0,0,0,0] row_mask:0xf bank_mask:0xf// 0000000103BC: 0BE908FA FF0000FD
	v_mul_f32_dpp v245, v253, v133 quad_perm:[1,1,1,1] row_mask:0xf bank_mask:0xf// 0000000103C4: 0BEB0AFA FF0055FD
	v_mul_f32_dpp v246, v253, v134 quad_perm:[2,2,2,2] row_mask:0xf bank_mask:0xf// 0000000103CC: 0BED0CFA FF00AAFD
	v_mul_f32_dpp v247, v253, v135 quad_perm:[3,3,3,3] row_mask:0xf bank_mask:0xf// 0000000103D4: 0BEF0EFA FF00FFFD
	v_mul_f32_dpp v248, v254, v136 quad_perm:[0,0,0,0] row_mask:0xf bank_mask:0xf// 0000000103DC: 0BF110FA FF0000FE
	v_mul_f32_dpp v249, v254, v137 quad_perm:[1,1,1,1] row_mask:0xf bank_mask:0xf// 0000000103E4: 0BF312FA FF0055FE
	v_mul_f32_dpp v250, v254, v138 quad_perm:[2,2,2,2] row_mask:0xf bank_mask:0xf// 0000000103EC: 0BF514FA FF00AAFE
	v_mul_f32_dpp v251, v254, v139 quad_perm:[3,3,3,3] row_mask:0xf bank_mask:0xf// 0000000103F4: 0BF716FA FF00FFFE
	v_mul_f32_dpp v252, v255, v140 quad_perm:[0,0,0,0] row_mask:0xf bank_mask:0xf// 0000000103FC: 0BF918FA FF0000FF
	v_mul_f32_dpp v253, v255, v141 quad_perm:[1,1,1,1] row_mask:0xf bank_mask:0xf// 000000010404: 0BFB1AFA FF0055FF
	v_mul_f32_dpp v254, v255, v142 quad_perm:[2,2,2,2] row_mask:0xf bank_mask:0xf// 00000001040C: 0BFD1CFA FF00AAFF
	v_mul_f32_dpp v255, v255, v143 quad_perm:[3,3,3,3] row_mask:0xf bank_mask:0xf// 000000010414: 0BFF1EFA FF00FFFF
	v_mov_b32_e32 v48, 0x358637bd                              // 00000001041C: 7E6002FF 358637BD
	v_max3_f32 v48, |v240|, |v241|, v48                        // 000000010424: D1D30330 04C3E3F0
	v_max3_f32 v48, |v242|, |v243|, v48                        // 00000001042C: D1D30330 04C3E7F2
	v_max3_f32 v48, |v244|, |v245|, v48                        // 000000010434: D1D30330 04C3EBF4
	v_max3_f32 v48, |v246|, |v247|, v48                        // 00000001043C: D1D30330 04C3EFF6
	v_max3_f32 v48, |v248|, |v249|, v48                        // 000000010444: D1D30330 04C3F3F8
	v_max3_f32 v48, |v250|, |v251|, v48                        // 00000001044C: D1D30330 04C3F7FA
	v_max3_f32 v48, |v252|, |v253|, v48                        // 000000010454: D1D30330 04C3FBFC
	v_max3_f32 v48, |v254|, |v255|, v48                        // 00000001045C: D1D30330 04C3FFFE
	ds_write_b32 v8, v48 offset:20992                          // 000000010464: D81A5200 00003008
	v_sub_f32_e32 v50, v12, v15                                // 00000001046C: 04641F0C
	v_cndmask_b32_e64 v50, v50, 0, s[40:41]                    // 000000010470: D1000032 00A10132
	v_mov_b32_e32 v12, v15                                     // 000000010478: 7E18030F
	v_mul_f32_e32 v50, s64, v50                                // 00000001047C: 0A646440
	v_exp_f32_e32 v50, v50                                     // 000000010480: 7E644132
	s_waitcnt lgkmcnt(0)                                       // 000000010484: BF8CC07F
	s_barrier                                                  // 000000010488: BF8A0000
	ds_read_b32 v64, v7 offset:20992                           // 00000001048C: D86C5200 40000007
	ds_read_b32 v65, v7 offset:21056                           // 000000010494: D86C5240 41000007
	ds_read_b32 v66, v7 offset:21120                           // 00000001049C: D86C5280 42000007
	ds_read_b32 v67, v7 offset:21184                           // 0000000104A4: D86C52C0 43000007
	ds_read_b32 v68, v7 offset:21248                           // 0000000104AC: D86C5300 44000007
	ds_read_b32 v69, v7 offset:21312                           // 0000000104B4: D86C5340 45000007
	ds_read_b32 v70, v7 offset:21376                           // 0000000104BC: D86C5380 46000007
	ds_read_b32 v71, v7 offset:21440                           // 0000000104C4: D86C53C0 47000007
	ds_read_b32 v72, v7 offset:21504                           // 0000000104CC: D86C5400 48000007
	ds_read_b32 v73, v7 offset:21568                           // 0000000104D4: D86C5440 49000007
	ds_read_b32 v74, v7 offset:21632                           // 0000000104DC: D86C5480 4A000007
	ds_read_b32 v75, v7 offset:21696                           // 0000000104E4: D86C54C0 4B000007
	ds_read_b32 v76, v7 offset:21760                           // 0000000104EC: D86C5500 4C000007
	ds_read_b32 v77, v7 offset:21824                           // 0000000104F4: D86C5540 4D000007
	ds_read_b32 v78, v7 offset:21888                           // 0000000104FC: D86C5580 4E000007
	ds_read_b32 v79, v7 offset:21952                           // 000000010504: D86C55C0 4F000007
	v_mul_f32_e32 v39, v50, v39                                // 00000001050C: 0A4E4F32
	v_mov_b32_e32 v15, v128                                    // 000000010510: 7E1E0380
	v_add_f32_e32 v15, v129, v15                               // 000000010514: 021E1F81
	v_add_f32_e32 v15, v130, v15                               // 000000010518: 021E1F82
	v_add_f32_e32 v15, v131, v15                               // 00000001051C: 021E1F83
	v_add_f32_e32 v15, v132, v15                               // 000000010520: 021E1F84
	v_add_f32_e32 v15, v133, v15                               // 000000010524: 021E1F85
	v_add_f32_e32 v15, v134, v15                               // 000000010528: 021E1F86
	v_add_f32_e32 v15, v135, v15                               // 00000001052C: 021E1F87
	v_add_f32_e32 v15, v136, v15                               // 000000010530: 021E1F88
	v_add_f32_e32 v15, v137, v15                               // 000000010534: 021E1F89
	v_add_f32_e32 v15, v138, v15                               // 000000010538: 021E1F8A
	v_add_f32_e32 v15, v139, v15                               // 00000001053C: 021E1F8B
	v_add_f32_e32 v15, v140, v15                               // 000000010540: 021E1F8C
	v_add_f32_e32 v15, v141, v15                               // 000000010544: 021E1F8D
	v_add_f32_e32 v15, v142, v15                               // 000000010548: 021E1F8E
	v_add_f32_e32 v15, v143, v15                               // 00000001054C: 021E1F8F
	v_add_f32_e32 v39, v15, v39                                // 000000010550: 024E4F0F
	s_waitcnt lgkmcnt(0)                                       // 000000010554: BF8CC07F
	v_max3_f32 v48, |v64|, |v65|, v48                          // 000000010558: D1D30330 04C28340
	v_max3_f32 v48, |v66|, |v67|, v48                          // 000000010560: D1D30330 04C28742
	v_max3_f32 v48, |v68|, |v69|, v48                          // 000000010568: D1D30330 04C28B44
	v_max3_f32 v48, |v70|, |v71|, v48                          // 000000010570: D1D30330 04C28F46
	v_max3_f32 v48, |v72|, |v73|, v48                          // 000000010578: D1D30330 04C29348
	v_max3_f32 v48, |v74|, |v75|, v48                          // 000000010580: D1D30330 04C2974A
	v_max3_f32 v48, |v76|, |v77|, v48                          // 000000010588: D1D30330 04C29B4C
	v_max3_f32 v48, |v78|, |v79|, v48                          // 000000010590: D1D30330 04C29F4E
	s_nop 2                                                    // 000000010598: BF800002
	v_rcp_f32_e32 v48, v48                                     // 00000001059C: 7E604530
	s_nop 1                                                    // 0000000105A0: BF800001
	v_mul_f32_e32 v48, 0x42fe0000, v48                         // 0000000105A4: 0A6060FF 42FE0000
	v_mul_f32_e32 v128, v48, v240                              // 0000000105AC: 0B01E130
	v_mul_f32_e32 v129, v48, v241                              // 0000000105B0: 0B03E330
	v_mul_f32_e32 v130, v48, v242                              // 0000000105B4: 0B05E530
	v_mul_f32_e32 v131, v48, v243                              // 0000000105B8: 0B07E730
	v_mul_f32_e32 v132, v48, v244                              // 0000000105BC: 0B09E930
	v_mul_f32_e32 v133, v48, v245                              // 0000000105C0: 0B0BEB30
	v_mul_f32_e32 v134, v48, v246                              // 0000000105C4: 0B0DED30
	v_mul_f32_e32 v135, v48, v247                              // 0000000105C8: 0B0FEF30
	v_mul_f32_e32 v136, v48, v248                              // 0000000105CC: 0B11F130
	v_mul_f32_e32 v137, v48, v249                              // 0000000105D0: 0B13F330
	v_mul_f32_e32 v138, v48, v250                              // 0000000105D4: 0B15F530
	v_mul_f32_e32 v139, v48, v251                              // 0000000105D8: 0B17F730
	v_mul_f32_e32 v140, v48, v252                              // 0000000105DC: 0B19F930
	v_mul_f32_e32 v141, v48, v253                              // 0000000105E0: 0B1BFB30
	v_mul_f32_e32 v142, v48, v254                              // 0000000105E4: 0B1DFD30
	v_mul_f32_e32 v143, v48, v255                              // 0000000105E8: 0B1FFF30
	v_cvt_i32_f32_e32 v128, v128                               // 0000000105EC: 7F001180
	v_cvt_i32_f32_e32 v129, v129                               // 0000000105F0: 7F021181
	v_cvt_i32_f32_e32 v130, v130                               // 0000000105F4: 7F041182
	v_cvt_i32_f32_e32 v131, v131                               // 0000000105F8: 7F061183
	v_cvt_i32_f32_e32 v132, v132                               // 0000000105FC: 7F081184
	v_cvt_i32_f32_e32 v133, v133                               // 000000010600: 7F0A1185
	v_cvt_i32_f32_e32 v134, v134                               // 000000010604: 7F0C1186
	v_cvt_i32_f32_e32 v135, v135                               // 000000010608: 7F0E1187
	v_cvt_i32_f32_e32 v136, v136                               // 00000001060C: 7F101188
	v_cvt_i32_f32_e32 v137, v137                               // 000000010610: 7F121189
	v_cvt_i32_f32_e32 v138, v138                               // 000000010614: 7F14118A
	v_cvt_i32_f32_e32 v139, v139                               // 000000010618: 7F16118B
	v_cvt_i32_f32_e32 v140, v140                               // 00000001061C: 7F18118C
	v_cvt_i32_f32_e32 v141, v141                               // 000000010620: 7F1A118D
	v_cvt_i32_f32_e32 v142, v142                               // 000000010624: 7F1C118E
	v_cvt_i32_f32_e32 v143, v143                               // 000000010628: 7F1E118F
	v_perm_b32 v128, v129, v128, s53                           // 00000001062C: D1ED0080 00D70181
	v_perm_b32 v128, v130, v128, s54                           // 000000010634: D1ED0080 00DB0182
	v_perm_b32 v128, v131, v128, s55                           // 00000001063C: D1ED0080 00DF0183
	v_perm_b32 v129, v133, v132, s53                           // 000000010644: D1ED0081 00D70985
	v_perm_b32 v129, v134, v129, s54                           // 00000001064C: D1ED0081 00DB0386
	v_perm_b32 v129, v135, v129, s55                           // 000000010654: D1ED0081 00DF0387
	v_perm_b32 v130, v137, v136, s53                           // 00000001065C: D1ED0082 00D71189
	v_perm_b32 v130, v138, v130, s54                           // 000000010664: D1ED0082 00DB058A
	v_perm_b32 v130, v139, v130, s55                           // 00000001066C: D1ED0082 00DF058B
	v_perm_b32 v131, v141, v140, s53                           // 000000010674: D1ED0083 00D7198D
	v_perm_b32 v131, v142, v131, s54                           // 00000001067C: D1ED0083 00DB078E
	v_perm_b32 v131, v143, v131, s55                           // 000000010684: D1ED0083 00DF078F
	ds_write_b32 v10, v128 offset:29184                        // 00000001068C: D81A7200 0000800A
	ds_write_b32 v10, v129 offset:30208                        // 000000010694: D81A7600 0000810A
	ds_write_b32 v10, v130 offset:31232                        // 00000001069C: D81A7A00 0000820A
	ds_write_b32 v10, v131 offset:32256                        // 0000000106A4: D81A7E00 0000830A
	v_add_f32_e32 v216, v216, v184                             // 0000000106AC: 03B171D8
	v_add_f32_e32 v217, v217, v185                             // 0000000106B0: 03B373D9
	v_add_f32_e32 v218, v218, v186                             // 0000000106B4: 03B575DA
	v_add_f32_e32 v219, v219, v187                             // 0000000106B8: 03B777DB
	v_add_f32_e32 v220, v220, v188                             // 0000000106BC: 03B979DC
	v_add_f32_e32 v221, v221, v189                             // 0000000106C0: 03BB7BDD
	v_add_f32_e32 v222, v222, v190                             // 0000000106C4: 03BD7DDE
	v_add_f32_e32 v223, v223, v191                             // 0000000106C8: 03BF7FDF
	v_rcp_f32_e32 v45, v48                                     // 0000000106CC: 7E5A4530
	s_waitcnt lgkmcnt(0)                                       // 0000000106D0: BF8CC07F
	s_barrier                                                  // 0000000106D4: BF8A0000
	ds_read_b64 v[128:129], v9 offset:29184                    // 0000000106D8: D8EC7200 80000009
	ds_read_b64 v[130:131], v9 offset:29312                    // 0000000106E0: D8EC7280 82000009
	ds_read_b64 v[132:133], v9 offset:30208                    // 0000000106E8: D8EC7600 84000009
	ds_read_b64 v[134:135], v9 offset:30336                    // 0000000106F0: D8EC7680 86000009
	ds_read_b64 v[136:137], v9 offset:31232                    // 0000000106F8: D8EC7A00 88000009
	ds_read_b64 v[138:139], v9 offset:31360                    // 000000010700: D8EC7A80 8A000009
	ds_read_b64 v[140:141], v9 offset:32256                    // 000000010708: D8EC7E00 8C000009
	ds_read_b64 v[142:143], v9 offset:32384                    // 000000010710: D8EC7E80 8E000009
	s_waitcnt vmcnt(0)                                         // 000000010718: BF8C0F70
	s_barrier                                                  // 00000001071C: BF8A0000
	v_mfma_i32_16x16x32_i8 v[176:179], a[96:97], v[112:113], 0 // 000000010720: D3D700B0 0A02E160
	v_mfma_i32_16x16x32_i8 v[176:179], a[98:99], v[114:115], v[176:179]// 000000010728: D3D700B0 0EC2E562
	v_mfma_i32_16x16x32_i8 v[176:179], a[100:101], v[116:117], v[176:179]// 000000010730: D3D700B0 0EC2E964
	v_mfma_i32_16x16x32_i8 v[176:179], a[102:103], v[118:119], v[176:179]// 000000010738: D3D700B0 0EC2ED66
	v_mfma_i32_16x16x32_i8 v[176:179], a[104:105], v[120:121], v[176:179]// 000000010740: D3D700B0 0EC2F168
	v_mfma_i32_16x16x32_i8 v[176:179], a[106:107], v[122:123], v[176:179]// 000000010748: D3D700B0 0EC2F56A
	v_mfma_i32_16x16x32_i8 v[176:179], a[108:109], v[124:125], v[176:179]// 000000010750: D3D700B0 0EC2F96C
	v_mfma_i32_16x16x32_i8 v[176:179], a[110:111], v[126:127], v[176:179]// 000000010758: D3D700B0 0EC2FD6E
	v_mfma_i32_16x16x32_i8 v[180:183], a[112:113], v[112:113], 0// 000000010760: D3D700B4 0A02E170
	v_mfma_i32_16x16x32_i8 v[180:183], a[114:115], v[114:115], v[180:183]// 000000010768: D3D700B4 0ED2E572
	v_mfma_i32_16x16x32_i8 v[180:183], a[116:117], v[116:117], v[180:183]// 000000010770: D3D700B4 0ED2E974
	v_mfma_i32_16x16x32_i8 v[180:183], a[118:119], v[118:119], v[180:183]// 000000010778: D3D700B4 0ED2ED76
	v_mfma_i32_16x16x32_i8 v[180:183], a[120:121], v[120:121], v[180:183]// 000000010780: D3D700B4 0ED2F178
	v_mfma_i32_16x16x32_i8 v[180:183], a[122:123], v[122:123], v[180:183]// 000000010788: D3D700B4 0ED2F57A
	v_mfma_i32_16x16x32_i8 v[180:183], a[124:125], v[124:125], v[180:183]// 000000010790: D3D700B4 0ED2F97C
	v_mfma_i32_16x16x32_i8 v[180:183], a[126:127], v[126:127], v[180:183]// 000000010798: D3D700B4 0ED2FD7E
	v_mfma_i32_16x16x32_i8 v[184:187], a[96:97], v[128:129], 0 // 0000000107A0: D3D700B8 0A030160
	v_mfma_i32_16x16x32_i8 v[184:187], a[98:99], v[130:131], v[184:187]// 0000000107A8: D3D700B8 0EE30562
	v_mfma_i32_16x16x32_i8 v[184:187], a[100:101], v[132:133], v[184:187]// 0000000107B0: D3D700B8 0EE30964
	v_mfma_i32_16x16x32_i8 v[184:187], a[102:103], v[134:135], v[184:187]// 0000000107B8: D3D700B8 0EE30D66
	v_mfma_i32_16x16x32_i8 v[184:187], a[104:105], v[136:137], v[184:187]// 0000000107C0: D3D700B8 0EE31168
	v_mfma_i32_16x16x32_i8 v[184:187], a[106:107], v[138:139], v[184:187]// 0000000107C8: D3D700B8 0EE3156A
	v_mfma_i32_16x16x32_i8 v[184:187], a[108:109], v[140:141], v[184:187]// 0000000107D0: D3D700B8 0EE3196C
	v_mfma_i32_16x16x32_i8 v[184:187], a[110:111], v[142:143], v[184:187]// 0000000107D8: D3D700B8 0EE31D6E
	v_mfma_i32_16x16x32_i8 v[188:191], a[112:113], v[128:129], 0// 0000000107E0: D3D700BC 0A030170
	v_mfma_i32_16x16x32_i8 v[188:191], a[114:115], v[130:131], v[188:191]// 0000000107E8: D3D700BC 0EF30572
	v_mfma_i32_16x16x32_i8 v[188:191], a[116:117], v[132:133], v[188:191]// 0000000107F0: D3D700BC 0EF30974
	v_mfma_i32_16x16x32_i8 v[188:191], a[118:119], v[134:135], v[188:191]// 0000000107F8: D3D700BC 0EF30D76
	v_mfma_i32_16x16x32_i8 v[188:191], a[120:121], v[136:137], v[188:191]// 000000010800: D3D700BC 0EF31178
	v_mfma_i32_16x16x32_i8 v[188:191], a[122:123], v[138:139], v[188:191]// 000000010808: D3D700BC 0EF3157A
	v_mfma_i32_16x16x32_i8 v[188:191], a[124:125], v[140:141], v[188:191]// 000000010810: D3D700BC 0EF3197C
	v_mfma_i32_16x16x32_i8 v[188:191], a[126:127], v[142:143], v[188:191]// 000000010818: D3D700BC 0EF31D7E
	s_nop 4                                                    // 000000010820: BF800004
	s_branch label_398A                                        // 000000010824: BF820000

0000000000010828 <label_398A>:
	v_mul_f32_e32 v208, v49, v208                              // 000000010828: 0BA1A131
	v_mul_f32_e32 v209, v49, v209                              // 00000001082C: 0BA3A331
	v_mul_f32_e32 v210, v49, v210                              // 000000010830: 0BA5A531
	v_mul_f32_e32 v211, v49, v211                              // 000000010834: 0BA7A731
	v_mul_f32_e32 v212, v49, v212                              // 000000010838: 0BA9A931
	v_mul_f32_e32 v213, v49, v213                              // 00000001083C: 0BABAB31
	v_mul_f32_e32 v214, v49, v214                              // 000000010840: 0BADAD31
	v_mul_f32_e32 v215, v49, v215                              // 000000010844: 0BAFAF31
	v_cvt_f32_i32_e32 v176, v176                               // 000000010848: 7F600BB0
	v_cvt_f32_i32_e32 v177, v177                               // 00000001084C: 7F620BB1
	v_cvt_f32_i32_e32 v178, v178                               // 000000010850: 7F640BB2
	v_cvt_f32_i32_e32 v179, v179                               // 000000010854: 7F660BB3
	v_cvt_f32_i32_e32 v180, v180                               // 000000010858: 7F680BB4
	v_cvt_f32_i32_e32 v181, v181                               // 00000001085C: 7F6A0BB5
	v_cvt_f32_i32_e32 v182, v182                               // 000000010860: 7F6C0BB6
	v_cvt_f32_i32_e32 v183, v183                               // 000000010864: 7F6E0BB7
	v_mul_f32_e32 v176, v44, v176                              // 000000010868: 0B61612C
	v_mul_f32_e32 v177, v44, v177                              // 00000001086C: 0B63632C
	v_mul_f32_e32 v178, v44, v178                              // 000000010870: 0B65652C
	v_mul_f32_e32 v179, v44, v179                              // 000000010874: 0B67672C
	v_mul_f32_e32 v180, v44, v180                              // 000000010878: 0B69692C
	v_mul_f32_e32 v181, v44, v181                              // 00000001087C: 0B6B6B2C
	v_mul_f32_e32 v182, v44, v182                              // 000000010880: 0B6D6D2C
	v_mul_f32_e32 v183, v44, v183                              // 000000010884: 0B6F6F2C
	v_add_f32_e32 v208, v208, v176                             // 000000010888: 03A161D0
	v_add_f32_e32 v209, v209, v177                             // 00000001088C: 03A363D1
	v_add_f32_e32 v210, v210, v178                             // 000000010890: 03A565D2
	v_add_f32_e32 v211, v211, v179                             // 000000010894: 03A767D3
	v_add_f32_e32 v212, v212, v180                             // 000000010898: 03A969D4
	v_add_f32_e32 v213, v213, v181                             // 00000001089C: 03AB6BD5
	v_add_f32_e32 v214, v214, v182                             // 0000000108A0: 03AD6DD6
	v_add_f32_e32 v215, v215, v183                             // 0000000108A4: 03AF6FD7
	ds_write_b32 v8, v38 offset:16896                          // 0000000108A8: D81A4200 00002608
	s_waitcnt lgkmcnt(0)                                       // 0000000108B0: BF8CC07F
	s_barrier                                                  // 0000000108B4: BF8A0000
	ds_read_b32 v64, v7 offset:16896                           // 0000000108B8: D86C4200 40000007
	ds_read_b32 v65, v7 offset:16960                           // 0000000108C0: D86C4240 41000007
	ds_read_b32 v66, v7 offset:17024                           // 0000000108C8: D86C4280 42000007
	ds_read_b32 v67, v7 offset:17088                           // 0000000108D0: D86C42C0 43000007
	ds_read_b32 v68, v7 offset:17152                           // 0000000108D8: D86C4300 44000007
	ds_read_b32 v69, v7 offset:17216                           // 0000000108E0: D86C4340 45000007
	ds_read_b32 v70, v7 offset:17280                           // 0000000108E8: D86C4380 46000007
	ds_read_b32 v71, v7 offset:17344                           // 0000000108F0: D86C43C0 47000007
	ds_read_b32 v72, v7 offset:17408                           // 0000000108F8: D86C4400 48000007
	ds_read_b32 v73, v7 offset:17472                           // 000000010900: D86C4440 49000007
	ds_read_b32 v74, v7 offset:17536                           // 000000010908: D86C4480 4A000007
	ds_read_b32 v75, v7 offset:17600                           // 000000010910: D86C44C0 4B000007
	ds_read_b32 v76, v7 offset:17664                           // 000000010918: D86C4500 4C000007
	ds_read_b32 v77, v7 offset:17728                           // 000000010920: D86C4540 4D000007
	ds_read_b32 v78, v7 offset:17792                           // 000000010928: D86C4580 4E000007
	ds_read_b32 v79, v7 offset:17856                           // 000000010930: D86C45C0 4F000007
	s_waitcnt lgkmcnt(0)                                       // 000000010938: BF8CC07F
	v_mov_b32_e32 v38, 0                                       // 00000001093C: 7E4C0280
	v_add_f32_e32 v38, v64, v38                                // 000000010940: 024C4D40
	v_add_f32_e32 v38, v65, v38                                // 000000010944: 024C4D41
	v_add_f32_e32 v38, v66, v38                                // 000000010948: 024C4D42
	v_add_f32_e32 v38, v67, v38                                // 00000001094C: 024C4D43
	v_add_f32_e32 v38, v68, v38                                // 000000010950: 024C4D44
	v_add_f32_e32 v38, v69, v38                                // 000000010954: 024C4D45
	v_add_f32_e32 v38, v70, v38                                // 000000010958: 024C4D46
	v_add_f32_e32 v38, v71, v38                                // 00000001095C: 024C4D47
	v_add_f32_e32 v38, v72, v38                                // 000000010960: 024C4D48
	v_add_f32_e32 v38, v73, v38                                // 000000010964: 024C4D49
	v_add_f32_e32 v38, v74, v38                                // 000000010968: 024C4D4A
	v_add_f32_e32 v38, v75, v38                                // 00000001096C: 024C4D4B
	v_add_f32_e32 v38, v76, v38                                // 000000010970: 024C4D4C
	v_add_f32_e32 v38, v77, v38                                // 000000010974: 024C4D4D
	v_add_f32_e32 v38, v78, v38                                // 000000010978: 024C4D4E
	v_add_f32_e32 v38, v79, v38                                // 00000001097C: 024C4D4F
	s_nop 1                                                    // 000000010980: BF800001
	v_rcp_f32_e32 v38, v38                                     // 000000010984: 7E4C4526
	s_nop 1                                                    // 000000010988: BF800001
	v_mul_f32_e32 v208, v38, v208                              // 00000001098C: 0BA1A126
	v_mul_f32_e32 v209, v38, v209                              // 000000010990: 0BA3A326
	v_mul_f32_e32 v210, v38, v210                              // 000000010994: 0BA5A526
	v_mul_f32_e32 v211, v38, v211                              // 000000010998: 0BA7A726
	v_mul_f32_e32 v212, v38, v212                              // 00000001099C: 0BA9A926
	v_mul_f32_e32 v213, v38, v213                              // 0000000109A0: 0BABAB26
	v_mul_f32_e32 v214, v38, v214                              // 0000000109A4: 0BADAD26
	v_mul_f32_e32 v215, v38, v215                              // 0000000109A8: 0BAFAF26
	v_mov_b32_e32 v19, 0xffff0000                              // 0000000109AC: 7E2602FF FFFF0000
	v_mov_b32_e32 v20, 0x7fff0000                              // 0000000109B4: 7E2802FF 7FFF0000
	v_mov_b32_e32 v21, 0x7fff                                  // 0000000109BC: 7E2A02FF 00007FFF
	v_cmp_u_f32_e64 s[40:41], v208, v208                       // 0000000109C4: D0480028 0003A1D0
	v_add3_u32 v18, v208, v21, 1                               // 0000000109CC: D1FF0012 02062BD0
	v_cndmask_b32_e64 v64, v18, v20, s[40:41]                  // 0000000109D4: D1000040 00A22912
	v_cmp_u_f32_e64 s[40:41], v209, v209                       // 0000000109DC: D0480028 0003A3D1
	v_add3_u32 v18, v209, v21, 1                               // 0000000109E4: D1FF0012 02062BD1
	v_cndmask_b32_e64 v65, v18, v20, s[40:41]                  // 0000000109EC: D1000041 00A22912
	v_perm_b32 v208, v65, v64, s52                             // 0000000109F4: D1ED00D0 00D28141
	v_cmp_u_f32_e64 s[40:41], v210, v210                       // 0000000109FC: D0480028 0003A5D2
	v_add3_u32 v18, v210, v21, 1                               // 000000010A04: D1FF0012 02062BD2
	v_cndmask_b32_e64 v64, v18, v20, s[40:41]                  // 000000010A0C: D1000040 00A22912
	v_cmp_u_f32_e64 s[40:41], v211, v211                       // 000000010A14: D0480028 0003A7D3
	v_add3_u32 v18, v211, v21, 1                               // 000000010A1C: D1FF0012 02062BD3
	v_cndmask_b32_e64 v65, v18, v20, s[40:41]                  // 000000010A24: D1000041 00A22912
	v_perm_b32 v209, v65, v64, s52                             // 000000010A2C: D1ED00D1 00D28141
	v_cmp_u_f32_e64 s[40:41], v212, v212                       // 000000010A34: D0480028 0003A9D4
	v_add3_u32 v18, v212, v21, 1                               // 000000010A3C: D1FF0012 02062BD4
	v_cndmask_b32_e64 v64, v18, v20, s[40:41]                  // 000000010A44: D1000040 00A22912
	v_cmp_u_f32_e64 s[40:41], v213, v213                       // 000000010A4C: D0480028 0003ABD5
	v_add3_u32 v18, v213, v21, 1                               // 000000010A54: D1FF0012 02062BD5
	v_cndmask_b32_e64 v65, v18, v20, s[40:41]                  // 000000010A5C: D1000041 00A22912
	v_perm_b32 v210, v65, v64, s52                             // 000000010A64: D1ED00D2 00D28141
	v_cmp_u_f32_e64 s[40:41], v214, v214                       // 000000010A6C: D0480028 0003ADD6
	v_add3_u32 v18, v214, v21, 1                               // 000000010A74: D1FF0012 02062BD6
	v_cndmask_b32_e64 v64, v18, v20, s[40:41]                  // 000000010A7C: D1000040 00A22912
	v_cmp_u_f32_e64 s[40:41], v215, v215                       // 000000010A84: D0480028 0003AFD7
	v_add3_u32 v18, v215, v21, 1                               // 000000010A8C: D1FF0012 02062BD7
	v_cndmask_b32_e64 v65, v18, v20, s[40:41]                  // 000000010A94: D1000041 00A22912
	v_perm_b32 v211, v65, v64, s52                             // 000000010A9C: D1ED00D3 00D28141
	s_nop 1                                                    // 000000010AA4: BF800001
	v_lshrrev_b32_e32 v64, 4, v0                               // 000000010AA8: 20800084
	v_mul_i32_i24_e32 v68, 34, v64                             // 000000010AAC: 0C8880A2
	v_and_b32_e32 v64, 15, v0                                  // 000000010AB0: 2680008F
	v_mul_i32_i24_e32 v65, 2, v64                              // 000000010AB4: 0C828082
	v_add_u32_e32 v68, v65, v68                                // 000000010AB8: 68888941
	s_mul_i32 s60, s7, 0x88                                    // 000000010ABC: 923CFF07 00000088
	v_add_u32_e32 v68, s60, v68                                // 000000010AC4: 6888883C
	v_lshlrev_b32_e32 v68, 2, v68                              // 000000010AC8: 24888882
	ds_write_b64 v68, v[208:209] offset:41472                  // 000000010ACC: D89AA200 0000D044
	ds_write_b64 v68, v[210:211] offset:43648                  // 000000010AD4: D89AAA80 0000D244
	v_lshrrev_b32_e32 v64, 1, v0                               // 000000010ADC: 20800081
	v_mul_i32_i24_e32 v68, 34, v64                             // 000000010AE0: 0C8880A2
	v_and_b32_e32 v65, 1, v0                                   // 000000010AE4: 26820081
	v_add_u32_e32 v68, v65, v68                                // 000000010AE8: 68888941
	s_mul_i32 s60, s7, 2                                       // 000000010AEC: 923C8207
	v_add_u32_e32 v68, s60, v68                                // 000000010AF0: 6888883C
	v_lshlrev_b32_e32 v68, 2, v68                              // 000000010AF4: 24888882
	s_waitcnt lgkmcnt(0)                                       // 000000010AF8: BF8CC07F
	s_barrier                                                  // 000000010AFC: BF8A0000
	ds_read_b32 v208, v68 offset:41472                         // 000000010B00: D86CA200 D0000044
	ds_read_b32 v209, v68 offset:41504                         // 000000010B08: D86CA220 D1000044
	ds_read_b32 v210, v68 offset:41536                         // 000000010B10: D86CA240 D2000044
	ds_read_b32 v211, v68 offset:41568                         // 000000010B18: D86CA260 D3000044
	s_mul_i32 s60, s7, 0x100                                   // 000000010B20: 923CFF07 00000100
	v_lshlrev_b32_e32 v64, 2, v0                               // 000000010B28: 24800082
	v_add_u32_e64 v64, v64, s60                                // 000000010B2C: D1340040 00007940
	s_waitcnt lgkmcnt(0)                                       // 000000010B34: BF8CC07F
	buffer_store_dword v208, v64, s[8:11], 0 offen             // 000000010B38: E0701000 8002D040
	buffer_store_dword v209, v64, s[8:11], 0 offen offset:1024 // 000000010B40: E0701400 8002D140
	buffer_store_dword v210, v64, s[8:11], 0 offen offset:2048 // 000000010B48: E0701800 8002D240
	buffer_store_dword v211, v64, s[8:11], 0 offen offset:3072 // 000000010B50: E0701C00 8002D340
	s_add_u32 s8, s75, s8                                      // 000000010B58: 8008084B
	s_addc_u32 s9, 0, s9                                       // 000000010B5C: 82090980
	v_mul_f32_e32 v216, v50, v216                              // 000000010B60: 0BB1B132
	v_mul_f32_e32 v217, v50, v217                              // 000000010B64: 0BB3B332
	v_mul_f32_e32 v218, v50, v218                              // 000000010B68: 0BB5B532
	v_mul_f32_e32 v219, v50, v219                              // 000000010B6C: 0BB7B732
	v_mul_f32_e32 v220, v50, v220                              // 000000010B70: 0BB9B932
	v_mul_f32_e32 v221, v50, v221                              // 000000010B74: 0BBBBB32
	v_mul_f32_e32 v222, v50, v222                              // 000000010B78: 0BBDBD32
	v_mul_f32_e32 v223, v50, v223                              // 000000010B7C: 0BBFBF32
	v_cvt_f32_i32_e32 v184, v184                               // 000000010B80: 7F700BB8
	v_cvt_f32_i32_e32 v185, v185                               // 000000010B84: 7F720BB9
	v_cvt_f32_i32_e32 v186, v186                               // 000000010B88: 7F740BBA
	v_cvt_f32_i32_e32 v187, v187                               // 000000010B8C: 7F760BBB
	v_cvt_f32_i32_e32 v188, v188                               // 000000010B90: 7F780BBC
	v_cvt_f32_i32_e32 v189, v189                               // 000000010B94: 7F7A0BBD
	v_cvt_f32_i32_e32 v190, v190                               // 000000010B98: 7F7C0BBE
	v_cvt_f32_i32_e32 v191, v191                               // 000000010B9C: 7F7E0BBF
	v_mul_f32_e32 v184, v45, v184                              // 000000010BA0: 0B71712D
	v_mul_f32_e32 v185, v45, v185                              // 000000010BA4: 0B73732D
	v_mul_f32_e32 v186, v45, v186                              // 000000010BA8: 0B75752D
	v_mul_f32_e32 v187, v45, v187                              // 000000010BAC: 0B77772D
	v_mul_f32_e32 v188, v45, v188                              // 000000010BB0: 0B79792D
	v_mul_f32_e32 v189, v45, v189                              // 000000010BB4: 0B7B7B2D
	v_mul_f32_e32 v190, v45, v190                              // 000000010BB8: 0B7D7D2D
	v_mul_f32_e32 v191, v45, v191                              // 000000010BBC: 0B7F7F2D
	v_add_f32_e32 v216, v216, v184                             // 000000010BC0: 03B171D8
	v_add_f32_e32 v217, v217, v185                             // 000000010BC4: 03B373D9
	v_add_f32_e32 v218, v218, v186                             // 000000010BC8: 03B575DA
	v_add_f32_e32 v219, v219, v187                             // 000000010BCC: 03B777DB
	v_add_f32_e32 v220, v220, v188                             // 000000010BD0: 03B979DC
	v_add_f32_e32 v221, v221, v189                             // 000000010BD4: 03BB7BDD
	v_add_f32_e32 v222, v222, v190                             // 000000010BD8: 03BD7DDE
	v_add_f32_e32 v223, v223, v191                             // 000000010BDC: 03BF7FDF
	ds_write_b32 v8, v39 offset:16896                          // 000000010BE0: D81A4200 00002708
	s_waitcnt lgkmcnt(0)                                       // 000000010BE8: BF8CC07F
	s_barrier                                                  // 000000010BEC: BF8A0000
	ds_read_b32 v64, v7 offset:16896                           // 000000010BF0: D86C4200 40000007
	ds_read_b32 v65, v7 offset:16960                           // 000000010BF8: D86C4240 41000007
	ds_read_b32 v66, v7 offset:17024                           // 000000010C00: D86C4280 42000007
	ds_read_b32 v67, v7 offset:17088                           // 000000010C08: D86C42C0 43000007
	ds_read_b32 v68, v7 offset:17152                           // 000000010C10: D86C4300 44000007
	ds_read_b32 v69, v7 offset:17216                           // 000000010C18: D86C4340 45000007
	ds_read_b32 v70, v7 offset:17280                           // 000000010C20: D86C4380 46000007
	ds_read_b32 v71, v7 offset:17344                           // 000000010C28: D86C43C0 47000007
	ds_read_b32 v72, v7 offset:17408                           // 000000010C30: D86C4400 48000007
	ds_read_b32 v73, v7 offset:17472                           // 000000010C38: D86C4440 49000007
	ds_read_b32 v74, v7 offset:17536                           // 000000010C40: D86C4480 4A000007
	ds_read_b32 v75, v7 offset:17600                           // 000000010C48: D86C44C0 4B000007
	ds_read_b32 v76, v7 offset:17664                           // 000000010C50: D86C4500 4C000007
	ds_read_b32 v77, v7 offset:17728                           // 000000010C58: D86C4540 4D000007
	ds_read_b32 v78, v7 offset:17792                           // 000000010C60: D86C4580 4E000007
	ds_read_b32 v79, v7 offset:17856                           // 000000010C68: D86C45C0 4F000007
	s_waitcnt lgkmcnt(0)                                       // 000000010C70: BF8CC07F
	v_mov_b32_e32 v39, 0                                       // 000000010C74: 7E4E0280
	v_add_f32_e32 v39, v64, v39                                // 000000010C78: 024E4F40
	v_add_f32_e32 v39, v65, v39                                // 000000010C7C: 024E4F41
	v_add_f32_e32 v39, v66, v39                                // 000000010C80: 024E4F42
	v_add_f32_e32 v39, v67, v39                                // 000000010C84: 024E4F43
	v_add_f32_e32 v39, v68, v39                                // 000000010C88: 024E4F44
	v_add_f32_e32 v39, v69, v39                                // 000000010C8C: 024E4F45
	v_add_f32_e32 v39, v70, v39                                // 000000010C90: 024E4F46
	v_add_f32_e32 v39, v71, v39                                // 000000010C94: 024E4F47
	v_add_f32_e32 v39, v72, v39                                // 000000010C98: 024E4F48
	v_add_f32_e32 v39, v73, v39                                // 000000010C9C: 024E4F49
	v_add_f32_e32 v39, v74, v39                                // 000000010CA0: 024E4F4A
	v_add_f32_e32 v39, v75, v39                                // 000000010CA4: 024E4F4B
	v_add_f32_e32 v39, v76, v39                                // 000000010CA8: 024E4F4C
	v_add_f32_e32 v39, v77, v39                                // 000000010CAC: 024E4F4D
	v_add_f32_e32 v39, v78, v39                                // 000000010CB0: 024E4F4E
	v_add_f32_e32 v39, v79, v39                                // 000000010CB4: 024E4F4F
	s_nop 1                                                    // 000000010CB8: BF800001
	v_rcp_f32_e32 v39, v39                                     // 000000010CBC: 7E4E4527
	s_nop 1                                                    // 000000010CC0: BF800001
	v_mul_f32_e32 v216, v39, v216                              // 000000010CC4: 0BB1B127
	v_mul_f32_e32 v217, v39, v217                              // 000000010CC8: 0BB3B327
	v_mul_f32_e32 v218, v39, v218                              // 000000010CCC: 0BB5B527
	v_mul_f32_e32 v219, v39, v219                              // 000000010CD0: 0BB7B727
	v_mul_f32_e32 v220, v39, v220                              // 000000010CD4: 0BB9B927
	v_mul_f32_e32 v221, v39, v221                              // 000000010CD8: 0BBBBB27
	v_mul_f32_e32 v222, v39, v222                              // 000000010CDC: 0BBDBD27
	v_mul_f32_e32 v223, v39, v223                              // 000000010CE0: 0BBFBF27
	v_mov_b32_e32 v19, 0xffff0000                              // 000000010CE4: 7E2602FF FFFF0000
	v_mov_b32_e32 v20, 0x7fff0000                              // 000000010CEC: 7E2802FF 7FFF0000
	v_mov_b32_e32 v21, 0x7fff                                  // 000000010CF4: 7E2A02FF 00007FFF
	v_cmp_u_f32_e64 s[40:41], v216, v216                       // 000000010CFC: D0480028 0003B1D8
	v_add3_u32 v18, v216, v21, 1                               // 000000010D04: D1FF0012 02062BD8
	v_cndmask_b32_e64 v64, v18, v20, s[40:41]                  // 000000010D0C: D1000040 00A22912
	v_cmp_u_f32_e64 s[40:41], v217, v217                       // 000000010D14: D0480028 0003B3D9
	v_add3_u32 v18, v217, v21, 1                               // 000000010D1C: D1FF0012 02062BD9
	v_cndmask_b32_e64 v65, v18, v20, s[40:41]                  // 000000010D24: D1000041 00A22912
	v_perm_b32 v216, v65, v64, s52                             // 000000010D2C: D1ED00D8 00D28141
	v_cmp_u_f32_e64 s[40:41], v218, v218                       // 000000010D34: D0480028 0003B5DA
	v_add3_u32 v18, v218, v21, 1                               // 000000010D3C: D1FF0012 02062BDA
	v_cndmask_b32_e64 v64, v18, v20, s[40:41]                  // 000000010D44: D1000040 00A22912
	v_cmp_u_f32_e64 s[40:41], v219, v219                       // 000000010D4C: D0480028 0003B7DB
	v_add3_u32 v18, v219, v21, 1                               // 000000010D54: D1FF0012 02062BDB
	v_cndmask_b32_e64 v65, v18, v20, s[40:41]                  // 000000010D5C: D1000041 00A22912
	v_perm_b32 v217, v65, v64, s52                             // 000000010D64: D1ED00D9 00D28141
	v_cmp_u_f32_e64 s[40:41], v220, v220                       // 000000010D6C: D0480028 0003B9DC
	v_add3_u32 v18, v220, v21, 1                               // 000000010D74: D1FF0012 02062BDC
	v_cndmask_b32_e64 v64, v18, v20, s[40:41]                  // 000000010D7C: D1000040 00A22912
	v_cmp_u_f32_e64 s[40:41], v221, v221                       // 000000010D84: D0480028 0003BBDD
	v_add3_u32 v18, v221, v21, 1                               // 000000010D8C: D1FF0012 02062BDD
	v_cndmask_b32_e64 v65, v18, v20, s[40:41]                  // 000000010D94: D1000041 00A22912
	v_perm_b32 v218, v65, v64, s52                             // 000000010D9C: D1ED00DA 00D28141
	v_cmp_u_f32_e64 s[40:41], v222, v222                       // 000000010DA4: D0480028 0003BDDE
	v_add3_u32 v18, v222, v21, 1                               // 000000010DAC: D1FF0012 02062BDE
	v_cndmask_b32_e64 v64, v18, v20, s[40:41]                  // 000000010DB4: D1000040 00A22912
	v_cmp_u_f32_e64 s[40:41], v223, v223                       // 000000010DBC: D0480028 0003BFDF
	v_add3_u32 v18, v223, v21, 1                               // 000000010DC4: D1FF0012 02062BDF
	v_cndmask_b32_e64 v65, v18, v20, s[40:41]                  // 000000010DCC: D1000041 00A22912
	v_perm_b32 v219, v65, v64, s52                             // 000000010DD4: D1ED00DB 00D28141
	s_nop 1                                                    // 000000010DDC: BF800001
	v_lshrrev_b32_e32 v64, 4, v0                               // 000000010DE0: 20800084
	v_mul_i32_i24_e32 v68, 34, v64                             // 000000010DE4: 0C8880A2
	v_and_b32_e32 v64, 15, v0                                  // 000000010DE8: 2680008F
	v_mul_i32_i24_e32 v65, 2, v64                              // 000000010DEC: 0C828082
	v_add_u32_e32 v68, v65, v68                                // 000000010DF0: 68888941
	s_mul_i32 s60, s7, 0x88                                    // 000000010DF4: 923CFF07 00000088
	v_add_u32_e32 v68, s60, v68                                // 000000010DFC: 6888883C
	v_lshlrev_b32_e32 v68, 2, v68                              // 000000010E00: 24888882
	ds_write_b64 v68, v[216:217] offset:41472                  // 000000010E04: D89AA200 0000D844
	ds_write_b64 v68, v[218:219] offset:43648                  // 000000010E0C: D89AAA80 0000DA44
	v_lshrrev_b32_e32 v64, 1, v0                               // 000000010E14: 20800081
	v_mul_i32_i24_e32 v68, 34, v64                             // 000000010E18: 0C8880A2
	v_and_b32_e32 v65, 1, v0                                   // 000000010E1C: 26820081
	v_add_u32_e32 v68, v65, v68                                // 000000010E20: 68888941
	s_mul_i32 s60, s7, 2                                       // 000000010E24: 923C8207
	v_add_u32_e32 v68, s60, v68                                // 000000010E28: 6888883C
	v_lshlrev_b32_e32 v68, 2, v68                              // 000000010E2C: 24888882
	s_waitcnt lgkmcnt(0)                                       // 000000010E30: BF8CC07F
	s_barrier                                                  // 000000010E34: BF8A0000
	ds_read_b32 v216, v68 offset:41472                         // 000000010E38: D86CA200 D8000044
	ds_read_b32 v217, v68 offset:41504                         // 000000010E40: D86CA220 D9000044
	ds_read_b32 v218, v68 offset:41536                         // 000000010E48: D86CA240 DA000044
	ds_read_b32 v219, v68 offset:41568                         // 000000010E50: D86CA260 DB000044
	s_mul_i32 s60, s7, 0x100                                   // 000000010E58: 923CFF07 00000100
	v_lshlrev_b32_e32 v64, 2, v0                               // 000000010E60: 24800082
	v_add_u32_e64 v64, v64, s60                                // 000000010E64: D1340040 00007940
	s_waitcnt lgkmcnt(0)                                       // 000000010E6C: BF8CC07F
	buffer_store_dword v216, v64, s[8:11], 0 offen             // 000000010E70: E0701000 8002D840
	buffer_store_dword v217, v64, s[8:11], 0 offen offset:1024 // 000000010E78: E0701400 8002D940
	buffer_store_dword v218, v64, s[8:11], 0 offen offset:2048 // 000000010E80: E0701800 8002DA40
	buffer_store_dword v219, v64, s[8:11], 0 offen offset:3072 // 000000010E88: E0701C00 8002DB40
	s_add_u32 s8, s75, s8                                      // 000000010E90: 8008084B
	s_addc_u32 s9, 0, s9                                       // 000000010E94: 82090980

0000000000010e98 <label_3B26>:
	s_branch label_7348                                        // 000000010E98: BF823821

0000000000010e9c <label_3B27>:
	s_mul_i32 s60, s3, s65                                     // 000000010E9C: 923C4103
	s_mul_i32 s60, s60, 4                                      // 000000010EA0: 923C843C
	s_add_u32 s24, s60, s24                                    // 000000010EA4: 8018183C
	s_addc_u32 s25, 0, s25                                     // 000000010EA8: 82191980
	s_mov_b32 s56, 64                                          // 000000010EAC: BEB800C0
	s_add_u32 s73, s72, 15                                     // 000000010EB0: 80498F48
	s_lshr_b32 s73, s73, 4                                     // 000000010EB4: 8F498449
	s_mul_i32 s60, s73, 4                                      // 000000010EB8: 923C8449
	s_mov_b32 s26, s60                                         // 000000010EBC: BE9A003C
	s_sub_u32 s89, s72, s86                                    // 000000010EC0: 80D95648
	s_mov_b32 s90, 0xff                                        // 000000010EC4: BEDA00FF 000000FF
	s_mov_b32 s91, 0x100                                       // 000000010ECC: BEDB00FF 00000100
	v_and_b32_e32 v65, 3, v0                                   // 000000010ED4: 26820083
	v_cmp_eq_u32_e64 s[60:61], 0, v65                          // 000000010ED8: D0CA003C 00028280
	v_and_b32_e32 v64, 12, v0                                  // 000000010EE0: 2680008C
	v_add_u32_e32 v1, s7, v64                                  // 000000010EE4: 68028007
	v_cndmask_b32_e64 v1, 0, v1, s[60:61]                      // 000000010EE8: D1000001 00F20280
	v_and_b32_e32 v65, 3, v0                                   // 000000010EF0: 26820083
	v_cmp_eq_u32_e64 s[60:61], 1, v65                          // 000000010EF4: D0CA003C 00028281
	v_lshrrev_b32_e32 v64, 4, v0                               // 000000010EFC: 20800084
	v_and_b32_e32 v65, 12, v0                                  // 000000010F00: 2682008C
	v_add_u32_e32 v64, v65, v64                                // 000000010F04: 68808141
	v_cndmask_b32_e64 v64, 0, v64, s[60:61]                    // 000000010F08: D1000040 00F28080
	v_add_u32_e32 v1, v1, v64                                  // 000000010F10: 68028101
	v_lshlrev_b32_e32 v1, 2, v1                                // 000000010F14: 24020282
	buffer_load_dword v16, v1, s[24:27], 0 offen               // 000000010F18: E0501000 80061001
	v_add_u32_e32 v1, s56, v1                                  // 000000010F20: 68020238
	buffer_load_dword v17, v1, s[24:27], 0 offen               // 000000010F24: E0501000 80061101
	s_cmp_le_u32 s73, 32                                       // 000000010F2C: BF0BA049
	s_cselect_b32 s56, 0, s56                                  // 000000010F30: 85383880
	s_mul_i32 s60, s2, s67                                     // 000000010F34: 923C4302
	s_mul_i32 s61, s84, s74                                    // 000000010F38: 923D4A54
	s_add_u32 s60, s60, s61                                    // 000000010F3C: 803C3D3C
	s_add_u32 s12, s60, s12                                    // 000000010F40: 800C0C3C
	s_addc_u32 s13, 0, s13                                     // 000000010F44: 820D0D80
	s_mul_i32 s60, s7, 0x108                                   // 000000010F48: 923CFF07 00000108
	s_add_u32 m0, 0, s60                                       // 000000010F50: 807C3C80
	s_mul_i32 s60, s7, 0x100                                   // 000000010F54: 923CFF07 00000100
	v_lshlrev_b32_e32 v64, 2, v0                               // 000000010F5C: 24800082
	v_add_u32_e64 v64, v64, s60                                // 000000010F60: D1340040 00007940
	v_add_u32_e32 v65, 0x400, v64                              // 000000010F68: 688280FF 00000400
	v_add_u32_e32 v66, 0x800, v64                              // 000000010F70: 688480FF 00000800
	v_add_u32_e32 v67, 0xc00, v64                              // 000000010F78: 688680FF 00000C00
	buffer_load_dword v64, s[12:15], 0 offen lds               // 000000010F80: E0511000 80030040
	s_mul_i32 s60, 4, 0x108                                    // 000000010F88: 923CFF84 00000108
	s_add_u32 m0, m0, s60                                      // 000000010F90: 807C3C7C
	buffer_load_dword v65, s[12:15], 0 offen lds               // 000000010F94: E0511000 80030041
	s_mul_i32 s60, 4, 0x108                                    // 000000010F9C: 923CFF84 00000108
	s_add_u32 m0, m0, s60                                      // 000000010FA4: 807C3C7C
	buffer_load_dword v66, s[12:15], 0 offen lds               // 000000010FA8: E0511000 80030042
	s_mul_i32 s60, 4, 0x108                                    // 000000010FB0: 923CFF84 00000108
	s_add_u32 m0, m0, s60                                      // 000000010FB8: 807C3C7C
	buffer_load_dword v67, s[12:15], 0 offen lds               // 000000010FBC: E0511000 80030043
	s_mul_i32 s60, 4, 0x108                                    // 000000010FC4: 923CFF84 00000108
	s_add_u32 m0, m0, s60                                      // 000000010FCC: 807C3C7C
	s_add_u32 s12, s74, s12                                    // 000000010FD0: 800C0C4A
	s_addc_u32 s13, 0, s13                                     // 000000010FD4: 820D0D80
	buffer_load_dword v64, s[12:15], 0 offen lds               // 000000010FD8: E0511000 80030040
	s_mul_i32 s60, 4, 0x108                                    // 000000010FE0: 923CFF84 00000108
	s_add_u32 m0, m0, s60                                      // 000000010FE8: 807C3C7C
	buffer_load_dword v65, s[12:15], 0 offen lds               // 000000010FEC: E0511000 80030041
	s_mul_i32 s60, 4, 0x108                                    // 000000010FF4: 923CFF84 00000108
	s_add_u32 m0, m0, s60                                      // 000000010FFC: 807C3C7C
	buffer_load_dword v66, s[12:15], 0 offen lds               // 000000011000: E0511000 80030042
	s_mul_i32 s60, 4, 0x108                                    // 000000011008: 923CFF84 00000108
	s_add_u32 m0, m0, s60                                      // 000000011010: 807C3C7C
	buffer_load_dword v67, s[12:15], 0 offen lds               // 000000011014: E0511000 80030043
	s_mul_i32 s60, 4, 0x108                                    // 00000001101C: 923CFF84 00000108
	s_add_u32 m0, m0, s60                                      // 000000011024: 807C3C7C
	s_add_u32 s12, s74, s12                                    // 000000011028: 800C0C4A
	s_addc_u32 s13, 0, s13                                     // 00000001102C: 820D0D80
	buffer_load_dword v64, s[12:15], 0 offen lds               // 000000011030: E0511000 80030040
	s_mul_i32 s60, 4, 0x108                                    // 000000011038: 923CFF84 00000108
	s_add_u32 m0, m0, s60                                      // 000000011040: 807C3C7C
	buffer_load_dword v65, s[12:15], 0 offen lds               // 000000011044: E0511000 80030041
	s_mul_i32 s60, 4, 0x108                                    // 00000001104C: 923CFF84 00000108
	s_add_u32 m0, m0, s60                                      // 000000011054: 807C3C7C
	buffer_load_dword v66, s[12:15], 0 offen lds               // 000000011058: E0511000 80030042
	s_mul_i32 s60, 4, 0x108                                    // 000000011060: 923CFF84 00000108
	s_add_u32 m0, m0, s60                                      // 000000011068: 807C3C7C
	buffer_load_dword v67, s[12:15], 0 offen lds               // 00000001106C: E0511000 80030043
	s_mul_i32 s60, 4, 0x108                                    // 000000011074: 923CFF84 00000108
	s_add_u32 m0, m0, s60                                      // 00000001107C: 807C3C7C
	s_add_u32 s12, s74, s12                                    // 000000011080: 800C0C4A
	s_addc_u32 s13, 0, s13                                     // 000000011084: 820D0D80
	v_lshrrev_b32_e32 v64, 4, v0                               // 000000011088: 20800084
	v_lshlrev_b32_e32 v64, 2, v64                              // 00000001108C: 24808082
	v_and_b32_e32 v65, 3, v0                                   // 000000011090: 26820083
	v_add_u32_e32 v64, v65, v64                                // 000000011094: 68808141
	v_lshlrev_b32_e32 v59, 2, v64                              // 000000011098: 24768082
	v_mov_b32_e32 v60, v59                                     // 00000001109C: 7E78033B
	s_mul_i32 s60, s2, 64                                      // 0000000110A0: 923CC002
	s_add_u32 s32, s60, s32                                    // 0000000110A4: 8020203C
	s_addc_u32 s33, 0, s33                                     // 0000000110A8: 82212180
	s_add_u32 s36, s60, s36                                    // 0000000110AC: 8024243C
	s_addc_u32 s37, 0, s37                                     // 0000000110B0: 82252580
	s_mul_i32 s60, s2, s76                                     // 0000000110B4: 923C4C02
	s_mul_i32 s61, s84, s75                                    // 0000000110B8: 923D4B54
	s_add_u32 s60, s60, s61                                    // 0000000110BC: 803C3D3C
	s_add_u32 s8, s60, s8                                      // 0000000110C0: 8008083C
	s_addc_u32 s9, 0, s9                                       // 0000000110C4: 82090980
	s_mov_b32 s70, 0                                           // 0000000110C8: BEC60080
	s_and_b32 s71, s72, 0xffffff00                             // 0000000110CC: 8647FF48 FFFFFF00
	s_mov_b32 s42, 0xff00ff00                                  // 0000000110D4: BEAA00FF FF00FF00
	s_mov_b32 s43, 0xff00ff00                                  // 0000000110DC: BEAB00FF FF00FF00
	s_mov_b32 s44, 0xf0f0f0f0                                  // 0000000110E4: BEAC00FF F0F0F0F0
	s_mov_b32 s45, 0xf0f0f0f0                                  // 0000000110EC: BEAD00FF F0F0F0F0
	s_mov_b32 s78, 0xff00ff                                    // 0000000110F4: BECE00FF 00FF00FF
	s_mov_b32 s79, 0xff00ff                                    // 0000000110FC: BECF00FF 00FF00FF
	v_mul_i32_i24_e64 v63, 64, s66                             // 000000011104: D106003F 000084C0
	v_mov_b32_e32 v54, s68                                     // 00000001110C: 7E6C0244
	s_mov_b32 s52, 0x7060302                                   // 000000011110: BEB400FF 07060302
	s_mov_b32 s53, 0x400                                       // 000000011118: BEB500FF 00000400
	s_mov_b32 s54, 0x40100                                     // 000000011120: BEB600FF 00040100
	s_mov_b32 s55, 0x4020100                                   // 000000011128: BEB700FF 04020100
	s_mov_b32 s6, 0x3fb8aa3b                                   // 000000011130: BE8600FF 3FB8AA3B
	v_mov_b32_e32 v11, 0xff800000                              // 000000011138: 7E1602FF FF800000
	v_mov_b32_e32 v12, 0xff800000                              // 000000011140: 7E1802FF FF800000
	v_mov_b32_e32 v49, 0                                       // 000000011148: 7E620280
	v_mov_b32_e32 v50, 0                                       // 00000001114C: 7E640280
	v_mov_b32_e32 v51, 0                                       // 000000011150: 7E660280
	v_mov_b32_e32 v38, 0                                       // 000000011154: 7E4C0280
	v_mov_b32_e32 v39, 0                                       // 000000011158: 7E4E0280
	v_mov_b32_e32 v40, 0                                       // 00000001115C: 7E500280
	v_mov_b32_e32 v44, 0                                       // 000000011160: 7E580280
	v_mov_b32_e32 v45, 0                                       // 000000011164: 7E5A0280
	v_mov_b32_e32 v46, 0                                       // 000000011168: 7E5C0280
	v_add_u32_e32 v1, s56, v1                                  // 00000001116C: 68020238
	v_and_b32_e32 v7, 15, v0                                   // 000000011170: 260E008F
	v_lshlrev_b32_e32 v7, 2, v7                                // 000000011174: 240E0E82
	v_lshlrev_b32_e32 v8, 2, v0                                // 000000011178: 24100082
	s_mul_i32 s60, 0x100, s7                                   // 00000001117C: 923C07FF 00000100
	v_add_u32_e32 v8, s60, v8                                  // 000000011184: 6810103C
	v_lshrrev_b32_e32 v64, 4, v0                               // 000000011188: 20800084
	v_lshlrev_b32_e32 v65, 6, v64                              // 00000001118C: 24828086
	v_and_b32_e32 v64, 15, v0                                  // 000000011190: 2680008F
	v_lshlrev_b32_e32 v64, 1, v64                              // 000000011194: 24808081
	v_add_u32_e32 v65, v64, v65                                // 000000011198: 68828340
	v_lshlrev_b32_e32 v9, 2, v65                               // 00000001119C: 24128282
	v_lshrrev_b32_e32 v64, 5, v0                               // 0000000111A0: 20800085
	v_lshlrev_b32_e32 v65, 5, v64                              // 0000000111A4: 24828085
	v_and_b32_e32 v64, 31, v0                                  // 0000000111A8: 2680009F
	v_lshrrev_b32_e32 v66, 4, v64                              // 0000000111AC: 20848084
	v_add_u32_e32 v65, v66, v65                                // 0000000111B0: 68828342
	v_and_b32_e32 v64, 15, v0                                  // 0000000111B4: 2680008F
	v_lshlrev_b32_e32 v64, 1, v64                              // 0000000111B8: 24808081
	v_add_u32_e32 v65, v64, v65                                // 0000000111BC: 68828340
	v_lshlrev_b32_e32 v64, 2, v65                              // 0000000111C0: 24808282
	s_mul_i32 s60, 0x100, s7                                   // 0000000111C4: 923C07FF 00000100
	v_add_u32_e64 v10, v64, s60                                // 0000000111CC: D134000A 00007940
	v_lshlrev_b32_e32 v5, 4, v0                                // 0000000111D4: 240A0084
	s_mul_i32 s60, s2, s69                                     // 0000000111D8: 923C4502
	s_add_u32 s16, s60, s16                                    // 0000000111DC: 8010103C
	s_addc_u32 s17, 0, s17                                     // 0000000111E0: 82111180
	v_and_b32_e32 v64, 15, v0                                  // 0000000111E4: 2680008F
	v_lshlrev_b32_e32 v6, 4, v64                               // 0000000111E8: 240C8084
	s_mul_i32 s61, s2, s69                                     // 0000000111EC: 923D4502
	s_mul_i32 s60, s7, 0x100                                   // 0000000111F0: 923CFF07 00000100
	s_add_u32 s60, s60, s61                                    // 0000000111F8: 803C3D3C
	s_add_u32 s20, s60, s20                                    // 0000000111FC: 8014143C
	s_addc_u32 s21, 0, s21                                     // 000000011200: 82151580
	s_waitcnt vmcnt(4)                                         // 000000011204: BF8C0F74
	v_mul_u32_u24_dpp v64, v16, v54 row_newbcast:0 row_mask:0xf bank_mask:0xf// 000000011208: 10806CFA FF015010
	v_mul_u32_u24_dpp v65, v16, v54 row_newbcast:4 row_mask:0xf bank_mask:0xf// 000000011210: 10826CFA FF015410
	v_mul_u32_u24_dpp v66, v16, v54 row_newbcast:8 row_mask:0xf bank_mask:0xf// 000000011218: 10846CFA FF015810
	v_mul_u32_u24_dpp v67, v16, v54 row_newbcast:12 row_mask:0xf bank_mask:0xf// 000000011220: 10866CFA FF015C10
	v_add_u32_e32 v22, v64, v5                                 // 000000011228: 682C0B40
	v_add_u32_e32 v23, v65, v5                                 // 00000001122C: 682E0B41
	v_add_u32_e32 v24, v66, v5                                 // 000000011230: 68300B42
	v_add_u32_e32 v25, v67, v5                                 // 000000011234: 68320B43
	v_mul_u32_u24_dpp v64, v16, v54 row_newbcast:1 row_mask:0xf bank_mask:0xf// 000000011238: 10806CFA FF015110
	v_mul_u32_u24_dpp v65, v16, v54 row_newbcast:5 row_mask:0xf bank_mask:0xf// 000000011240: 10826CFA FF015510
	v_mul_u32_u24_dpp v66, v16, v54 row_newbcast:9 row_mask:0xf bank_mask:0xf// 000000011248: 10846CFA FF015910
	v_mul_u32_u24_dpp v67, v16, v54 row_newbcast:13 row_mask:0xf bank_mask:0xf// 000000011250: 10866CFA FF015D10
	v_add_u32_e32 v30, v64, v6                                 // 000000011258: 683C0D40
	v_add_u32_e32 v31, v65, v6                                 // 00000001125C: 683E0D41
	v_add_u32_e32 v32, v66, v6                                 // 000000011260: 68400D42
	v_add_u32_e32 v33, v67, v6                                 // 000000011264: 68420D43
	v_mul_u32_u24_dpp v64, v16, v63 quad_perm:[0,0,0,0] row_mask:0xf bank_mask:0xf// 000000011268: 10807EFA FF000010
	v_add_u32_e32 v2, v64, v59                                 // 000000011270: 68047740
	v_mul_u32_u24_dpp v64, v16, v63 quad_perm:[0,0,0,0] row_mask:0xf bank_mask:0xf// 000000011274: 10807EFA FF000010
	v_add_u32_e32 v55, v64, v60                                // 00000001127C: 686E7940
	buffer_load_dword v42, v2, s[32:35], 0 offen               // 000000011280: E0501000 80082A02
	buffer_load_dwordx4 a[0:3], v22, s[16:19], 0 offen         // 000000011288: E05C1000 80840016
	buffer_load_dwordx4 a[4:7], v22, s[16:19], 0 offen offset:1024// 000000011290: E05C1400 80840416
	buffer_load_dwordx4 a[8:11], v23, s[16:19], 0 offen        // 000000011298: E05C1000 80840817
	buffer_load_dwordx4 a[12:15], v23, s[16:19], 0 offen offset:1024// 0000000112A0: E05C1400 80840C17
	buffer_load_dwordx4 a[16:19], v24, s[16:19], 0 offen       // 0000000112A8: E05C1000 80841018
	buffer_load_dwordx4 a[20:23], v24, s[16:19], 0 offen offset:1024// 0000000112B0: E05C1400 80841418
	buffer_load_dwordx4 a[24:27], v25, s[16:19], 0 offen       // 0000000112B8: E05C1000 80841819
	buffer_load_dwordx4 a[28:31], v25, s[16:19], 0 offen offset:1024// 0000000112C0: E05C1400 80841C19
	buffer_load_dword v57, v55, s[36:39], 0 offen              // 0000000112C8: E0501000 80093937
	buffer_load_dwordx4 a[64:67], v30, s[20:23], 0 offen       // 0000000112D0: E05C1000 8085401E
	buffer_load_dwordx4 a[68:71], v31, s[20:23], 0 offen       // 0000000112D8: E05C1000 8085441F
	buffer_load_dwordx4 a[72:75], v32, s[20:23], 0 offen       // 0000000112E0: E05C1000 80854820
	buffer_load_dwordx4 a[76:79], v33, s[20:23], 0 offen       // 0000000112E8: E05C1000 80854C21
	buffer_load_dwordx4 a[80:83], v30, s[20:23], 0 offen offset:1024// 0000000112F0: E05C1400 8085501E
	buffer_load_dwordx4 a[84:87], v31, s[20:23], 0 offen offset:1024// 0000000112F8: E05C1400 8085541F
	buffer_load_dwordx4 a[88:91], v32, s[20:23], 0 offen offset:1024// 000000011300: E05C1400 80855820
	buffer_load_dwordx4 a[92:95], v33, s[20:23], 0 offen offset:1024// 000000011308: E05C1400 80855C21
	v_lshrrev_b32_e32 v64, 4, v0                               // 000000011310: 20800084
	v_lshlrev_b32_e32 v65, 1, v64                              // 000000011314: 24828081
	v_and_b32_e32 v64, 15, v0                                  // 000000011318: 2680008F
	v_mul_i32_i24_e32 v64, 0x42, v64                           // 00000001131C: 0C8080FF 00000042
	v_add_u32_e32 v65, v64, v65                                // 000000011324: 68828340
	v_lshlrev_b32_e32 v4, 2, v65                               // 000000011328: 24088282
	s_mul_i32 s60, s7, 32                                      // 00000001132C: 923CA007
	v_add_u32_e32 v4, s60, v4                                  // 000000011330: 6808083C
	s_waitcnt vmcnt(16) lgkmcnt(0)                             // 000000011334: BF8C4070
	s_barrier                                                  // 000000011338: BF8A0000
	ds_read_b64 v[80:81], v4                                   // 00000001133C: D8EC0000 50000004
	ds_read_b64 v[84:85], v4 offset:128                        // 000000011344: D8EC0080 54000004
	s_waitcnt lgkmcnt(0)                                       // 00000001134C: BF8CC07F
	v_and_b32_e32 v83, 0xffff0000, v81                         // 000000011350: 26A6A2FF FFFF0000
	v_lshlrev_b32_e32 v82, 16, v81                             // 000000011358: 24A4A290
	v_and_b32_e32 v81, 0xffff0000, v80                         // 00000001135C: 26A2A0FF FFFF0000
	v_lshlrev_b32_e32 v80, 16, v80                             // 000000011364: 24A0A090
	v_and_b32_e32 v87, 0xffff0000, v85                         // 000000011368: 26AEAAFF FFFF0000
	v_lshlrev_b32_e32 v86, 16, v85                             // 000000011370: 24ACAA90
	v_and_b32_e32 v85, 0xffff0000, v84                         // 000000011374: 26AAA8FF FFFF0000
	v_lshlrev_b32_e32 v84, 16, v84                             // 00000001137C: 24A8A890
	v_mov_b32_e32 v48, 0x358637bd                              // 000000011380: 7E6002FF 358637BD
	v_max3_f32 v48, |v80|, |v81|, v48                          // 000000011388: D1D30330 04C2A350
	v_max3_f32 v48, |v82|, |v83|, v48                          // 000000011390: D1D30330 04C2A752
	v_max3_f32 v48, |v84|, |v85|, v48                          // 000000011398: D1D30330 04C2AB54
	v_max3_f32 v48, |v86|, |v87|, v48                          // 0000000113A0: D1D30330 04C2AF56
	ds_write_b32 v8, v48 offset:16896                          // 0000000113A8: D81A4200 00003008
	s_waitcnt lgkmcnt(0)                                       // 0000000113B0: BF8CC07F
	s_barrier                                                  // 0000000113B4: BF8A0000
	ds_read_b32 v64, v7 offset:16896                           // 0000000113B8: D86C4200 40000007
	ds_read_b32 v65, v7 offset:16960                           // 0000000113C0: D86C4240 41000007
	ds_read_b32 v66, v7 offset:17024                           // 0000000113C8: D86C4280 42000007
	ds_read_b32 v67, v7 offset:17088                           // 0000000113D0: D86C42C0 43000007
	ds_read_b32 v68, v7 offset:17152                           // 0000000113D8: D86C4300 44000007
	ds_read_b32 v69, v7 offset:17216                           // 0000000113E0: D86C4340 45000007
	ds_read_b32 v70, v7 offset:17280                           // 0000000113E8: D86C4380 46000007
	ds_read_b32 v71, v7 offset:17344                           // 0000000113F0: D86C43C0 47000007
	ds_read_b32 v72, v7 offset:17408                           // 0000000113F8: D86C4400 48000007
	ds_read_b32 v73, v7 offset:17472                           // 000000011400: D86C4440 49000007
	ds_read_b32 v74, v7 offset:17536                           // 000000011408: D86C4480 4A000007
	ds_read_b32 v75, v7 offset:17600                           // 000000011410: D86C44C0 4B000007
	ds_read_b32 v76, v7 offset:17664                           // 000000011418: D86C4500 4C000007
	ds_read_b32 v77, v7 offset:17728                           // 000000011420: D86C4540 4D000007
	ds_read_b32 v78, v7 offset:17792                           // 000000011428: D86C4580 4E000007
	ds_read_b32 v79, v7 offset:17856                           // 000000011430: D86C45C0 4F000007
	s_waitcnt lgkmcnt(0)                                       // 000000011438: BF8CC07F
	v_max3_f32 v48, |v64|, |v65|, v48                          // 00000001143C: D1D30330 04C28340
	v_max3_f32 v48, |v66|, |v67|, v48                          // 000000011444: D1D30330 04C28742
	v_max3_f32 v48, |v68|, |v69|, v48                          // 00000001144C: D1D30330 04C28B44
	v_max3_f32 v48, |v70|, |v71|, v48                          // 000000011454: D1D30330 04C28F46
	v_max3_f32 v48, |v72|, |v73|, v48                          // 00000001145C: D1D30330 04C29348
	v_max3_f32 v48, |v74|, |v75|, v48                          // 000000011464: D1D30330 04C2974A
	v_max3_f32 v48, |v76|, |v77|, v48                          // 00000001146C: D1D30330 04C29B4C
	v_max3_f32 v48, |v78|, |v79|, v48                          // 000000011474: D1D30330 04C29F4E
	v_rcp_f32_e32 v48, v48                                     // 00000001147C: 7E604530
	s_nop 1                                                    // 000000011480: BF800001
	v_mul_f32_e32 v48, 0x42fe0000, v48                         // 000000011484: 0A6060FF 42FE0000
	v_mul_f32_e32 v80, v48, v80                                // 00000001148C: 0AA0A130
	v_mul_f32_e32 v81, v48, v81                                // 000000011490: 0AA2A330
	v_mul_f32_e32 v82, v48, v82                                // 000000011494: 0AA4A530
	v_mul_f32_e32 v83, v48, v83                                // 000000011498: 0AA6A730
	v_mul_f32_e32 v84, v48, v84                                // 00000001149C: 0AA8A930
	v_mul_f32_e32 v85, v48, v85                                // 0000000114A0: 0AAAAB30
	v_mul_f32_e32 v86, v48, v86                                // 0000000114A4: 0AACAD30
	v_mul_f32_e32 v87, v48, v87                                // 0000000114A8: 0AAEAF30
	v_cvt_i32_f32_e32 v80, v80                                 // 0000000114AC: 7EA01150
	v_cvt_i32_f32_e32 v81, v81                                 // 0000000114B0: 7EA21151
	v_cvt_i32_f32_e32 v82, v82                                 // 0000000114B4: 7EA41152
	v_cvt_i32_f32_e32 v83, v83                                 // 0000000114B8: 7EA61153
	v_cvt_i32_f32_e32 v84, v84                                 // 0000000114BC: 7EA81154
	v_cvt_i32_f32_e32 v85, v85                                 // 0000000114C0: 7EAA1155
	v_cvt_i32_f32_e32 v86, v86                                 // 0000000114C4: 7EAC1156
	v_cvt_i32_f32_e32 v87, v87                                 // 0000000114C8: 7EAE1157
	v_rcp_f32_e32 v18, v48                                     // 0000000114CC: 7E244530
	v_perm_b32 v80, v81, v80, s53                              // 0000000114D0: D1ED0050 00D6A151
	v_perm_b32 v80, v82, v80, s54                              // 0000000114D8: D1ED0050 00DAA152
	v_perm_b32 v80, v83, v80, s55                              // 0000000114E0: D1ED0050 00DEA153
	v_perm_b32 v81, v85, v84, s53                              // 0000000114E8: D1ED0051 00D6A955
	v_perm_b32 v81, v86, v81, s54                              // 0000000114F0: D1ED0051 00DAA356
	v_perm_b32 v81, v87, v81, s55                              // 0000000114F8: D1ED0051 00DEA357
	ds_write_b32 v10, v80 offset:25088                         // 000000011500: D81A6200 0000500A
	ds_write_b32 v10, v81 offset:26112                         // 000000011508: D81A6600 0000510A
	s_waitcnt lgkmcnt(0)                                       // 000000011510: BF8CC07F
	s_barrier                                                  // 000000011514: BF8A0000
	ds_read_b64 v[80:81], v9 offset:25088                      // 000000011518: D8EC6200 50000009
	ds_read_b64 v[82:83], v9 offset:25216                      // 000000011520: D8EC6280 52000009
	ds_read_b64 v[84:85], v9 offset:26112                      // 000000011528: D8EC6600 54000009
	ds_read_b64 v[86:87], v9 offset:26240                      // 000000011530: D8EC6680 56000009
	v_mov_b32_e32 v208, 0                                      // 000000011538: 7FA00280
	v_mov_b32_e32 v209, 0                                      // 00000001153C: 7FA20280
	v_mov_b32_e32 v210, 0                                      // 000000011540: 7FA40280
	v_mov_b32_e32 v211, 0                                      // 000000011544: 7FA60280
	v_mov_b32_e32 v212, 0                                      // 000000011548: 7FA80280
	v_mov_b32_e32 v213, 0                                      // 00000001154C: 7FAA0280
	v_mov_b32_e32 v214, 0                                      // 000000011550: 7FAC0280
	v_mov_b32_e32 v215, 0                                      // 000000011554: 7FAE0280
	v_mov_b32_e32 v176, 0                                      // 000000011558: 7F600280
	v_mov_b32_e32 v177, 0                                      // 00000001155C: 7F620280
	v_mov_b32_e32 v178, 0                                      // 000000011560: 7F640280
	v_mov_b32_e32 v179, 0                                      // 000000011564: 7F660280
	v_mov_b32_e32 v180, 0                                      // 000000011568: 7F680280
	v_mov_b32_e32 v181, 0                                      // 00000001156C: 7F6A0280
	v_mov_b32_e32 v182, 0                                      // 000000011570: 7F6C0280
	v_mov_b32_e32 v183, 0                                      // 000000011574: 7F6E0280
	ds_read_b64 v[88:89], v4 offset:4224                       // 000000011578: D8EC1080 58000004
	ds_read_b64 v[92:93], v4 offset:4352                       // 000000011580: D8EC1100 5C000004
	s_waitcnt lgkmcnt(0)                                       // 000000011588: BF8CC07F
	v_and_b32_e32 v91, 0xffff0000, v89                         // 00000001158C: 26B6B2FF FFFF0000
	v_lshlrev_b32_e32 v90, 16, v89                             // 000000011594: 24B4B290
	v_and_b32_e32 v89, 0xffff0000, v88                         // 000000011598: 26B2B0FF FFFF0000
	v_lshlrev_b32_e32 v88, 16, v88                             // 0000000115A0: 24B0B090
	v_and_b32_e32 v95, 0xffff0000, v93                         // 0000000115A4: 26BEBAFF FFFF0000
	v_lshlrev_b32_e32 v94, 16, v93                             // 0000000115AC: 24BCBA90
	v_and_b32_e32 v93, 0xffff0000, v92                         // 0000000115B0: 26BAB8FF FFFF0000
	v_lshlrev_b32_e32 v92, 16, v92                             // 0000000115B8: 24B8B890
	v_mov_b32_e32 v48, 0x358637bd                              // 0000000115BC: 7E6002FF 358637BD
	v_max3_f32 v48, |v88|, |v89|, v48                          // 0000000115C4: D1D30330 04C2B358
	v_max3_f32 v48, |v90|, |v91|, v48                          // 0000000115CC: D1D30330 04C2B75A
	v_max3_f32 v48, |v92|, |v93|, v48                          // 0000000115D4: D1D30330 04C2BB5C
	v_max3_f32 v48, |v94|, |v95|, v48                          // 0000000115DC: D1D30330 04C2BF5E
	ds_write_b32 v8, v48 offset:16896                          // 0000000115E4: D81A4200 00003008
	s_waitcnt lgkmcnt(0)                                       // 0000000115EC: BF8CC07F
	s_barrier                                                  // 0000000115F0: BF8A0000
	ds_read_b32 v64, v7 offset:16896                           // 0000000115F4: D86C4200 40000007
	ds_read_b32 v65, v7 offset:16960                           // 0000000115FC: D86C4240 41000007
	ds_read_b32 v66, v7 offset:17024                           // 000000011604: D86C4280 42000007
	ds_read_b32 v67, v7 offset:17088                           // 00000001160C: D86C42C0 43000007
	ds_read_b32 v68, v7 offset:17152                           // 000000011614: D86C4300 44000007
	ds_read_b32 v69, v7 offset:17216                           // 00000001161C: D86C4340 45000007
	ds_read_b32 v70, v7 offset:17280                           // 000000011624: D86C4380 46000007
	ds_read_b32 v71, v7 offset:17344                           // 00000001162C: D86C43C0 47000007
	ds_read_b32 v72, v7 offset:17408                           // 000000011634: D86C4400 48000007
	ds_read_b32 v73, v7 offset:17472                           // 00000001163C: D86C4440 49000007
	ds_read_b32 v74, v7 offset:17536                           // 000000011644: D86C4480 4A000007
	ds_read_b32 v75, v7 offset:17600                           // 00000001164C: D86C44C0 4B000007
	ds_read_b32 v76, v7 offset:17664                           // 000000011654: D86C4500 4C000007
	ds_read_b32 v77, v7 offset:17728                           // 00000001165C: D86C4540 4D000007
	ds_read_b32 v78, v7 offset:17792                           // 000000011664: D86C4580 4E000007
	ds_read_b32 v79, v7 offset:17856                           // 00000001166C: D86C45C0 4F000007
	s_waitcnt lgkmcnt(0)                                       // 000000011674: BF8CC07F
	v_max3_f32 v48, |v64|, |v65|, v48                          // 000000011678: D1D30330 04C28340
	v_max3_f32 v48, |v66|, |v67|, v48                          // 000000011680: D1D30330 04C28742
	v_max3_f32 v48, |v68|, |v69|, v48                          // 000000011688: D1D30330 04C28B44
	v_max3_f32 v48, |v70|, |v71|, v48                          // 000000011690: D1D30330 04C28F46
	v_max3_f32 v48, |v72|, |v73|, v48                          // 000000011698: D1D30330 04C29348
	v_max3_f32 v48, |v74|, |v75|, v48                          // 0000000116A0: D1D30330 04C2974A
	v_max3_f32 v48, |v76|, |v77|, v48                          // 0000000116A8: D1D30330 04C29B4C
	v_max3_f32 v48, |v78|, |v79|, v48                          // 0000000116B0: D1D30330 04C29F4E
	v_rcp_f32_e32 v48, v48                                     // 0000000116B8: 7E604530
	s_nop 1                                                    // 0000000116BC: BF800001
	v_mul_f32_e32 v48, 0x42fe0000, v48                         // 0000000116C0: 0A6060FF 42FE0000
	v_mul_f32_e32 v88, v48, v88                                // 0000000116C8: 0AB0B130
	v_mul_f32_e32 v89, v48, v89                                // 0000000116CC: 0AB2B330
	v_mul_f32_e32 v90, v48, v90                                // 0000000116D0: 0AB4B530
	v_mul_f32_e32 v91, v48, v91                                // 0000000116D4: 0AB6B730
	v_mul_f32_e32 v92, v48, v92                                // 0000000116D8: 0AB8B930
	v_mul_f32_e32 v93, v48, v93                                // 0000000116DC: 0ABABB30
	v_mul_f32_e32 v94, v48, v94                                // 0000000116E0: 0ABCBD30
	v_mul_f32_e32 v95, v48, v95                                // 0000000116E4: 0ABEBF30
	v_cvt_i32_f32_e32 v88, v88                                 // 0000000116E8: 7EB01158
	v_cvt_i32_f32_e32 v89, v89                                 // 0000000116EC: 7EB21159
	v_cvt_i32_f32_e32 v90, v90                                 // 0000000116F0: 7EB4115A
	v_cvt_i32_f32_e32 v91, v91                                 // 0000000116F4: 7EB6115B
	v_cvt_i32_f32_e32 v92, v92                                 // 0000000116F8: 7EB8115C
	v_cvt_i32_f32_e32 v93, v93                                 // 0000000116FC: 7EBA115D
	v_cvt_i32_f32_e32 v94, v94                                 // 000000011700: 7EBC115E
	v_cvt_i32_f32_e32 v95, v95                                 // 000000011704: 7EBE115F
	v_rcp_f32_e32 v19, v48                                     // 000000011708: 7E264530
	v_perm_b32 v88, v89, v88, s53                              // 00000001170C: D1ED0058 00D6B159
	v_perm_b32 v88, v90, v88, s54                              // 000000011714: D1ED0058 00DAB15A
	v_perm_b32 v88, v91, v88, s55                              // 00000001171C: D1ED0058 00DEB15B
	v_perm_b32 v89, v93, v92, s53                              // 000000011724: D1ED0059 00D6B95D
	v_perm_b32 v89, v94, v89, s54                              // 00000001172C: D1ED0059 00DAB35E
	v_perm_b32 v89, v95, v89, s55                              // 000000011734: D1ED0059 00DEB35F
	ds_write_b32 v10, v88 offset:25088                         // 00000001173C: D81A6200 0000580A
	ds_write_b32 v10, v89 offset:26112                         // 000000011744: D81A6600 0000590A
	s_waitcnt lgkmcnt(0)                                       // 00000001174C: BF8CC07F
	s_barrier                                                  // 000000011750: BF8A0000
	ds_read_b64 v[88:89], v9 offset:25088                      // 000000011754: D8EC6200 58000009
	ds_read_b64 v[90:91], v9 offset:25216                      // 00000001175C: D8EC6280 5A000009
	ds_read_b64 v[92:93], v9 offset:26112                      // 000000011764: D8EC6600 5C000009
	ds_read_b64 v[94:95], v9 offset:26240                      // 00000001176C: D8EC6680 5E000009
	v_mov_b32_e32 v216, 0                                      // 000000011774: 7FB00280
	v_mov_b32_e32 v217, 0                                      // 000000011778: 7FB20280
	v_mov_b32_e32 v218, 0                                      // 00000001177C: 7FB40280
	v_mov_b32_e32 v219, 0                                      // 000000011780: 7FB60280
	v_mov_b32_e32 v220, 0                                      // 000000011784: 7FB80280
	v_mov_b32_e32 v221, 0                                      // 000000011788: 7FBA0280
	v_mov_b32_e32 v222, 0                                      // 00000001178C: 7FBC0280
	v_mov_b32_e32 v223, 0                                      // 000000011790: 7FBE0280
	v_mov_b32_e32 v184, 0                                      // 000000011794: 7F700280
	v_mov_b32_e32 v185, 0                                      // 000000011798: 7F720280
	v_mov_b32_e32 v186, 0                                      // 00000001179C: 7F740280
	v_mov_b32_e32 v187, 0                                      // 0000000117A0: 7F760280
	v_mov_b32_e32 v188, 0                                      // 0000000117A4: 7F780280
	v_mov_b32_e32 v189, 0                                      // 0000000117A8: 7F7A0280
	v_mov_b32_e32 v190, 0                                      // 0000000117AC: 7F7C0280
	v_mov_b32_e32 v191, 0                                      // 0000000117B0: 7F7E0280
	ds_read_b64 v[96:97], v4 offset:8448                       // 0000000117B4: D8EC2100 60000004
	ds_read_b64 v[100:101], v4 offset:8576                     // 0000000117BC: D8EC2180 64000004
	s_waitcnt lgkmcnt(0)                                       // 0000000117C4: BF8CC07F
	v_and_b32_e32 v99, 0xffff0000, v97                         // 0000000117C8: 26C6C2FF FFFF0000
	v_lshlrev_b32_e32 v98, 16, v97                             // 0000000117D0: 24C4C290
	v_and_b32_e32 v97, 0xffff0000, v96                         // 0000000117D4: 26C2C0FF FFFF0000
	v_lshlrev_b32_e32 v96, 16, v96                             // 0000000117DC: 24C0C090
	v_and_b32_e32 v103, 0xffff0000, v101                       // 0000000117E0: 26CECAFF FFFF0000
	v_lshlrev_b32_e32 v102, 16, v101                           // 0000000117E8: 24CCCA90
	v_and_b32_e32 v101, 0xffff0000, v100                       // 0000000117EC: 26CAC8FF FFFF0000
	v_lshlrev_b32_e32 v100, 16, v100                           // 0000000117F4: 24C8C890
	v_mov_b32_e32 v48, 0x358637bd                              // 0000000117F8: 7E6002FF 358637BD
	v_max3_f32 v48, |v96|, |v97|, v48                          // 000000011800: D1D30330 04C2C360
	v_max3_f32 v48, |v98|, |v99|, v48                          // 000000011808: D1D30330 04C2C762
	v_max3_f32 v48, |v100|, |v101|, v48                        // 000000011810: D1D30330 04C2CB64
	v_max3_f32 v48, |v102|, |v103|, v48                        // 000000011818: D1D30330 04C2CF66
	ds_write_b32 v8, v48 offset:16896                          // 000000011820: D81A4200 00003008
	s_waitcnt lgkmcnt(0)                                       // 000000011828: BF8CC07F
	s_barrier                                                  // 00000001182C: BF8A0000
	ds_read_b32 v64, v7 offset:16896                           // 000000011830: D86C4200 40000007
	ds_read_b32 v65, v7 offset:16960                           // 000000011838: D86C4240 41000007
	ds_read_b32 v66, v7 offset:17024                           // 000000011840: D86C4280 42000007
	ds_read_b32 v67, v7 offset:17088                           // 000000011848: D86C42C0 43000007
	ds_read_b32 v68, v7 offset:17152                           // 000000011850: D86C4300 44000007
	ds_read_b32 v69, v7 offset:17216                           // 000000011858: D86C4340 45000007
	ds_read_b32 v70, v7 offset:17280                           // 000000011860: D86C4380 46000007
	ds_read_b32 v71, v7 offset:17344                           // 000000011868: D86C43C0 47000007
	ds_read_b32 v72, v7 offset:17408                           // 000000011870: D86C4400 48000007
	ds_read_b32 v73, v7 offset:17472                           // 000000011878: D86C4440 49000007
	ds_read_b32 v74, v7 offset:17536                           // 000000011880: D86C4480 4A000007
	ds_read_b32 v75, v7 offset:17600                           // 000000011888: D86C44C0 4B000007
	ds_read_b32 v76, v7 offset:17664                           // 000000011890: D86C4500 4C000007
	ds_read_b32 v77, v7 offset:17728                           // 000000011898: D86C4540 4D000007
	ds_read_b32 v78, v7 offset:17792                           // 0000000118A0: D86C4580 4E000007
	ds_read_b32 v79, v7 offset:17856                           // 0000000118A8: D86C45C0 4F000007
	s_waitcnt lgkmcnt(0)                                       // 0000000118B0: BF8CC07F
	v_max3_f32 v48, |v64|, |v65|, v48                          // 0000000118B4: D1D30330 04C28340
	v_max3_f32 v48, |v66|, |v67|, v48                          // 0000000118BC: D1D30330 04C28742
	v_max3_f32 v48, |v68|, |v69|, v48                          // 0000000118C4: D1D30330 04C28B44
	v_max3_f32 v48, |v70|, |v71|, v48                          // 0000000118CC: D1D30330 04C28F46
	v_max3_f32 v48, |v72|, |v73|, v48                          // 0000000118D4: D1D30330 04C29348
	v_max3_f32 v48, |v74|, |v75|, v48                          // 0000000118DC: D1D30330 04C2974A
	v_max3_f32 v48, |v76|, |v77|, v48                          // 0000000118E4: D1D30330 04C29B4C
	v_max3_f32 v48, |v78|, |v79|, v48                          // 0000000118EC: D1D30330 04C29F4E
	v_rcp_f32_e32 v48, v48                                     // 0000000118F4: 7E604530
	s_nop 1                                                    // 0000000118F8: BF800001
	v_mul_f32_e32 v48, 0x42fe0000, v48                         // 0000000118FC: 0A6060FF 42FE0000
	v_mul_f32_e32 v96, v48, v96                                // 000000011904: 0AC0C130
	v_mul_f32_e32 v97, v48, v97                                // 000000011908: 0AC2C330
	v_mul_f32_e32 v98, v48, v98                                // 00000001190C: 0AC4C530
	v_mul_f32_e32 v99, v48, v99                                // 000000011910: 0AC6C730
	v_mul_f32_e32 v100, v48, v100                              // 000000011914: 0AC8C930
	v_mul_f32_e32 v101, v48, v101                              // 000000011918: 0ACACB30
	v_mul_f32_e32 v102, v48, v102                              // 00000001191C: 0ACCCD30
	v_mul_f32_e32 v103, v48, v103                              // 000000011920: 0ACECF30
	v_cvt_i32_f32_e32 v96, v96                                 // 000000011924: 7EC01160
	v_cvt_i32_f32_e32 v97, v97                                 // 000000011928: 7EC21161
	v_cvt_i32_f32_e32 v98, v98                                 // 00000001192C: 7EC41162
	v_cvt_i32_f32_e32 v99, v99                                 // 000000011930: 7EC61163
	v_cvt_i32_f32_e32 v100, v100                               // 000000011934: 7EC81164
	v_cvt_i32_f32_e32 v101, v101                               // 000000011938: 7ECA1165
	v_cvt_i32_f32_e32 v102, v102                               // 00000001193C: 7ECC1166
	v_cvt_i32_f32_e32 v103, v103                               // 000000011940: 7ECE1167
	v_rcp_f32_e32 v20, v48                                     // 000000011944: 7E284530
	v_perm_b32 v96, v97, v96, s53                              // 000000011948: D1ED0060 00D6C161
	v_perm_b32 v96, v98, v96, s54                              // 000000011950: D1ED0060 00DAC162
	v_perm_b32 v96, v99, v96, s55                              // 000000011958: D1ED0060 00DEC163
	v_perm_b32 v97, v101, v100, s53                            // 000000011960: D1ED0061 00D6C965
	v_perm_b32 v97, v102, v97, s54                             // 000000011968: D1ED0061 00DAC366
	v_perm_b32 v97, v103, v97, s55                             // 000000011970: D1ED0061 00DEC367
	ds_write_b32 v10, v96 offset:25088                         // 000000011978: D81A6200 0000600A
	ds_write_b32 v10, v97 offset:26112                         // 000000011980: D81A6600 0000610A
	s_waitcnt lgkmcnt(0)                                       // 000000011988: BF8CC07F
	s_barrier                                                  // 00000001198C: BF8A0000
	ds_read_b64 v[96:97], v9 offset:25088                      // 000000011990: D8EC6200 60000009
	ds_read_b64 v[98:99], v9 offset:25216                      // 000000011998: D8EC6280 62000009
	ds_read_b64 v[100:101], v9 offset:26112                    // 0000000119A0: D8EC6600 64000009
	ds_read_b64 v[102:103], v9 offset:26240                    // 0000000119A8: D8EC6680 66000009
	v_mov_b32_e32 v224, 0                                      // 0000000119B0: 7FC00280
	v_mov_b32_e32 v225, 0                                      // 0000000119B4: 7FC20280
	v_mov_b32_e32 v226, 0                                      // 0000000119B8: 7FC40280
	v_mov_b32_e32 v227, 0                                      // 0000000119BC: 7FC60280
	v_mov_b32_e32 v228, 0                                      // 0000000119C0: 7FC80280
	v_mov_b32_e32 v229, 0                                      // 0000000119C4: 7FCA0280
	v_mov_b32_e32 v230, 0                                      // 0000000119C8: 7FCC0280
	v_mov_b32_e32 v231, 0                                      // 0000000119CC: 7FCE0280
	v_mov_b32_e32 v192, 0                                      // 0000000119D0: 7F800280
	v_mov_b32_e32 v193, 0                                      // 0000000119D4: 7F820280
	v_mov_b32_e32 v194, 0                                      // 0000000119D8: 7F840280
	v_mov_b32_e32 v195, 0                                      // 0000000119DC: 7F860280
	v_mov_b32_e32 v196, 0                                      // 0000000119E0: 7F880280
	v_mov_b32_e32 v197, 0                                      // 0000000119E4: 7F8A0280
	v_mov_b32_e32 v198, 0                                      // 0000000119E8: 7F8C0280
	v_mov_b32_e32 v199, 0                                      // 0000000119EC: 7F8E0280
	s_waitcnt vmcnt(8) lgkmcnt(0)                              // 0000000119F0: BF8C0078
	s_barrier                                                  // 0000000119F4: BF8A0000
	s_cmp_lt_u32 s73, 16                                       // 0000000119F8: BF0A9049
	s_cbranch_scc1 label_5E87                                  // 0000000119FC: BF852087
	s_cmp_lt_i32 s7, 2                                         // 000000011A00: BF048207
	s_cbranch_scc0 label_4E46                                  // 000000011A04: BF841044

0000000000011a08 <label_3E02>:
	s_waitcnt vmcnt(8) lgkmcnt(0)                              // 000000011A08: BF8C0078
	v_mul_u32_u24_dpp v64, v17, v54 row_newbcast:0 row_mask:0xf bank_mask:0xf// 000000011A0C: 10806CFA FF015011
	v_mul_u32_u24_dpp v65, v17, v54 row_newbcast:4 row_mask:0xf bank_mask:0xf// 000000011A14: 10826CFA FF015411
	v_mul_u32_u24_dpp v66, v17, v54 row_newbcast:8 row_mask:0xf bank_mask:0xf// 000000011A1C: 10846CFA FF015811
	v_mul_u32_u24_dpp v67, v17, v54 row_newbcast:12 row_mask:0xf bank_mask:0xf// 000000011A24: 10866CFA FF015C11
	v_add_u32_e32 v26, v64, v5                                 // 000000011A2C: 68340B40
	v_add_u32_e32 v27, v65, v5                                 // 000000011A30: 68360B41
	v_add_u32_e32 v28, v66, v5                                 // 000000011A34: 68380B42
	v_add_u32_e32 v29, v67, v5                                 // 000000011A38: 683A0B43
	v_mul_u32_u24_dpp v64, v17, v63 quad_perm:[0,0,0,0] row_mask:0xf bank_mask:0xf// 000000011A3C: 10807EFA FF000011
	v_add_u32_e32 v3, v64, v59                                 // 000000011A44: 68067740
	v_mul_u32_u24_dpp v64, v17, v63 quad_perm:[0,0,0,0] row_mask:0xf bank_mask:0xf// 000000011A48: 10807EFA FF000011
	v_add_u32_e32 v56, v64, v60                                // 000000011A50: 68707940
	v_mfma_i32_16x16x32_i8 v[112:115], a[0:1], v[80:81], 0     // 000000011A54: D3D70070 0A02A100
	v_mfma_i32_16x16x32_i8 v[112:115], a[2:3], v[82:83], v[112:115]// 000000011A5C: D3D70070 0DC2A502
	buffer_load_dwordx4 a[32:35], v26, s[16:19], 0 offen       // 000000011A64: E05C1000 8084201A
	v_mfma_i32_16x16x32_i8 v[112:115], a[4:5], v[84:85], v[112:115]// 000000011A6C: D3D70070 0DC2A904
	v_mfma_i32_16x16x32_i8 v[112:115], a[6:7], v[86:87], v[112:115]// 000000011A74: D3D70070 0DC2AD06
	buffer_load_dword v16, v1, s[24:27], 0 offen               // 000000011A7C: E0501000 80061001
	v_mfma_i32_16x16x32_i8 v[116:119], a[8:9], v[80:81], 0     // 000000011A84: D3D70074 0A02A108
	v_mfma_i32_16x16x32_i8 v[116:119], a[10:11], v[82:83], v[116:119]// 000000011A8C: D3D70074 0DD2A50A
	buffer_load_dwordx4 a[36:39], v26, s[16:19], 0 offen offset:1024// 000000011A94: E05C1400 8084241A
	v_mfma_i32_16x16x32_i8 v[116:119], a[12:13], v[84:85], v[116:119]// 000000011A9C: D3D70074 0DD2A90C
	v_mfma_i32_16x16x32_i8 v[116:119], a[14:15], v[86:87], v[116:119]// 000000011AA4: D3D70074 0DD2AD0E
	v_mfma_i32_16x16x32_i8 v[120:123], a[16:17], v[80:81], 0   // 000000011AAC: D3D70078 0A02A110
	v_mfma_i32_16x16x32_i8 v[120:123], a[18:19], v[82:83], v[120:123]// 000000011AB4: D3D70078 0DE2A512
	buffer_load_dwordx4 a[40:43], v27, s[16:19], 0 offen       // 000000011ABC: E05C1000 8084281B
	v_mfma_i32_16x16x32_i8 v[120:123], a[20:21], v[84:85], v[120:123]// 000000011AC4: D3D70078 0DE2A914
	v_mfma_i32_16x16x32_i8 v[120:123], a[22:23], v[86:87], v[120:123]// 000000011ACC: D3D70078 0DE2AD16
	v_mfma_i32_16x16x32_i8 v[124:127], a[24:25], v[80:81], 0   // 000000011AD4: D3D7007C 0A02A118
	v_mfma_i32_16x16x32_i8 v[124:127], a[26:27], v[82:83], v[124:127]// 000000011ADC: D3D7007C 0DF2A51A
	buffer_load_dwordx4 a[44:47], v27, s[16:19], 0 offen offset:1024// 000000011AE4: E05C1400 80842C1B
	v_mfma_i32_16x16x32_i8 v[124:127], a[28:29], v[84:85], v[124:127]// 000000011AEC: D3D7007C 0DF2A91C
	v_mfma_i32_16x16x32_i8 v[124:127], a[30:31], v[86:87], v[124:127]// 000000011AF4: D3D7007C 0DF2AD1E
	v_mfma_i32_16x16x32_i8 v[128:131], a[0:1], v[88:89], 0     // 000000011AFC: D3D70080 0A02B100
	v_mfma_i32_16x16x32_i8 v[128:131], a[2:3], v[90:91], v[128:131]// 000000011B04: D3D70080 0E02B502
	v_mfma_i32_16x16x32_i8 v[128:131], a[4:5], v[92:93], v[128:131]// 000000011B0C: D3D70080 0E02B904
	v_mfma_i32_16x16x32_i8 v[128:131], a[6:7], v[94:95], v[128:131]// 000000011B14: D3D70080 0E02BD06
	v_mfma_i32_16x16x32_i8 v[132:135], a[8:9], v[88:89], 0     // 000000011B1C: D3D70084 0A02B108
	v_mfma_i32_16x16x32_i8 v[132:135], a[10:11], v[90:91], v[132:135]// 000000011B24: D3D70084 0E12B50A
	v_mfma_i32_16x16x32_i8 v[132:135], a[12:13], v[92:93], v[132:135]// 000000011B2C: D3D70084 0E12B90C
	v_mfma_i32_16x16x32_i8 v[132:135], a[14:15], v[94:95], v[132:135]// 000000011B34: D3D70084 0E12BD0E
	v_mfma_i32_16x16x32_i8 v[136:139], a[16:17], v[88:89], 0   // 000000011B3C: D3D70088 0A02B110
	v_mfma_i32_16x16x32_i8 v[136:139], a[18:19], v[90:91], v[136:139]// 000000011B44: D3D70088 0E22B512
	v_mfma_i32_16x16x32_i8 v[136:139], a[20:21], v[92:93], v[136:139]// 000000011B4C: D3D70088 0E22B914
	v_mfma_i32_16x16x32_i8 v[136:139], a[22:23], v[94:95], v[136:139]// 000000011B54: D3D70088 0E22BD16
	v_mfma_i32_16x16x32_i8 v[140:143], a[24:25], v[88:89], 0   // 000000011B5C: D3D7008C 0A02B118
	v_mfma_i32_16x16x32_i8 v[140:143], a[26:27], v[90:91], v[140:143]// 000000011B64: D3D7008C 0E32B51A
	v_mfma_i32_16x16x32_i8 v[140:143], a[28:29], v[92:93], v[140:143]// 000000011B6C: D3D7008C 0E32B91C
	v_mfma_i32_16x16x32_i8 v[140:143], a[30:31], v[94:95], v[140:143]// 000000011B74: D3D7008C 0E32BD1E
	v_mfma_i32_16x16x32_i8 v[144:147], a[0:1], v[96:97], 0     // 000000011B7C: D3D70090 0A02C100
	v_mfma_i32_16x16x32_i8 v[144:147], a[2:3], v[98:99], v[144:147]// 000000011B84: D3D70090 0E42C502
	v_mfma_i32_16x16x32_i8 v[144:147], a[4:5], v[100:101], v[144:147]// 000000011B8C: D3D70090 0E42C904
	v_mfma_i32_16x16x32_i8 v[144:147], a[6:7], v[102:103], v[144:147]// 000000011B94: D3D70090 0E42CD06
	v_mfma_i32_16x16x32_i8 v[148:151], a[8:9], v[96:97], 0     // 000000011B9C: D3D70094 0A02C108
	v_mfma_i32_16x16x32_i8 v[148:151], a[10:11], v[98:99], v[148:151]// 000000011BA4: D3D70094 0E52C50A
	v_mfma_i32_16x16x32_i8 v[148:151], a[12:13], v[100:101], v[148:151]// 000000011BAC: D3D70094 0E52C90C
	v_mfma_i32_16x16x32_i8 v[148:151], a[14:15], v[102:103], v[148:151]// 000000011BB4: D3D70094 0E52CD0E
	v_mfma_i32_16x16x32_i8 v[152:155], a[16:17], v[96:97], 0   // 000000011BBC: D3D70098 0A02C110
	v_mfma_i32_16x16x32_i8 v[152:155], a[18:19], v[98:99], v[152:155]// 000000011BC4: D3D70098 0E62C512
	v_mfma_i32_16x16x32_i8 v[152:155], a[20:21], v[100:101], v[152:155]// 000000011BCC: D3D70098 0E62C914
	v_mfma_i32_16x16x32_i8 v[152:155], a[22:23], v[102:103], v[152:155]// 000000011BD4: D3D70098 0E62CD16
	v_mfma_i32_16x16x32_i8 v[156:159], a[24:25], v[96:97], 0   // 000000011BDC: D3D7009C 0A02C118
	v_mfma_i32_16x16x32_i8 v[156:159], a[26:27], v[98:99], v[156:159]// 000000011BE4: D3D7009C 0E72C51A
	v_mfma_i32_16x16x32_i8 v[156:159], a[28:29], v[100:101], v[156:159]// 000000011BEC: D3D7009C 0E72C91C
	v_mfma_i32_16x16x32_i8 v[156:159], a[30:31], v[102:103], v[156:159]// 000000011BF4: D3D7009C 0E72CD1E
	buffer_load_dword v43, v3, s[32:35], 0 offen               // 000000011BFC: E0501000 80082B03
	v_mov_b32_dpp v64, v42 row_shr:4 row_mask:0xf bank_mask:0xf// 000000011C04: 7E8002FA FF01142A
	v_mov_b32_dpp v65, v42 row_shl:4 row_mask:0xf bank_mask:0xf// 000000011C0C: 7E8202FA FF01042A
	v_cndmask_b32_e64 v248, v42, v64, s[44:45]                 // 000000011C14: D10000F8 00B2812A
	v_cndmask_b32_e64 v249, v65, v42, s[44:45]                 // 000000011C1C: D10000F9 00B25541
	v_mov_b32_dpp v64, v248 row_shr:8 row_mask:0xf bank_mask:0xf// 000000011C24: 7E8002FA FF0118F8
	v_mov_b32_dpp v65, v248 row_shl:8 row_mask:0xf bank_mask:0xf// 000000011C2C: 7E8202FA FF0108F8
	v_mov_b32_dpp v66, v249 row_shr:8 row_mask:0xf bank_mask:0xf// 000000011C34: 7E8402FA FF0118F9
	v_mov_b32_dpp v67, v249 row_shl:8 row_mask:0xf bank_mask:0xf// 000000011C3C: 7E8602FA FF0108F9
	v_mov_b32_e32 v68, v248                                    // 000000011C44: 7E8803F8
	v_mov_b32_e32 v69, v249                                    // 000000011C48: 7E8A03F9
	v_cndmask_b32_e64 v248, v68, v64, s[42:43]                 // 000000011C4C: D10000F8 00AA8144
	v_cndmask_b32_e64 v250, v68, v65, s[78:79]                 // 000000011C54: D10000FA 013A8344
	v_cndmask_b32_e64 v249, v69, v66, s[42:43]                 // 000000011C5C: D10000F9 00AA8545
	v_cndmask_b32_e64 v251, v69, v67, s[78:79]                 // 000000011C64: D10000FB 013A8745
	v_mov_b32_dpp v64, v57 row_shr:4 row_mask:0xf bank_mask:0xf// 000000011C6C: 7E8002FA FF011439
	v_mov_b32_dpp v65, v57 row_shl:4 row_mask:0xf bank_mask:0xf// 000000011C74: 7E8202FA FF010439
	v_cndmask_b32_e64 v252, v57, v64, s[44:45]                 // 000000011C7C: D10000FC 00B28139
	v_cndmask_b32_e64 v253, v65, v57, s[44:45]                 // 000000011C84: D10000FD 00B27341
	v_mov_b32_dpp v64, v252 row_shr:8 row_mask:0xf bank_mask:0xf// 000000011C8C: 7E8002FA FF0118FC
	v_mov_b32_dpp v65, v252 row_shl:8 row_mask:0xf bank_mask:0xf// 000000011C94: 7E8202FA FF0108FC
	v_mov_b32_dpp v66, v253 row_shr:8 row_mask:0xf bank_mask:0xf// 000000011C9C: 7E8402FA FF0118FD
	v_mov_b32_dpp v67, v253 row_shl:8 row_mask:0xf bank_mask:0xf// 000000011CA4: 7E8602FA FF0108FD
	v_mov_b32_e32 v68, v252                                    // 000000011CAC: 7E8803FC
	v_mov_b32_e32 v69, v253                                    // 000000011CB0: 7E8A03FD
	v_cndmask_b32_e64 v252, v68, v64, s[42:43]                 // 000000011CB4: D10000FC 00AA8144
	v_cndmask_b32_e64 v254, v68, v65, s[78:79]                 // 000000011CBC: D10000FE 013A8344
	v_cndmask_b32_e64 v253, v69, v66, s[42:43]                 // 000000011CC4: D10000FD 00AA8545
	v_cndmask_b32_e64 v255, v69, v67, s[78:79]                 // 000000011CCC: D10000FF 013A8745
	buffer_load_dword v58, v56, s[36:39], 0 offen              // 000000011CD4: E0501000 80093A38
	v_cvt_f32_i32_e32 v112, v112                               // 000000011CDC: 7EE00B70
	v_cvt_f32_i32_e32 v113, v113                               // 000000011CE0: 7EE20B71
	v_cvt_f32_i32_e32 v114, v114                               // 000000011CE4: 7EE40B72
	v_cvt_f32_i32_e32 v115, v115                               // 000000011CE8: 7EE60B73
	v_cvt_f32_i32_e32 v116, v116                               // 000000011CEC: 7EE80B74
	v_cvt_f32_i32_e32 v117, v117                               // 000000011CF0: 7EEA0B75
	v_cvt_f32_i32_e32 v118, v118                               // 000000011CF4: 7EEC0B76
	v_cvt_f32_i32_e32 v119, v119                               // 000000011CF8: 7EEE0B77
	v_cvt_f32_i32_e32 v120, v120                               // 000000011CFC: 7EF00B78
	v_cvt_f32_i32_e32 v121, v121                               // 000000011D00: 7EF20B79
	v_cvt_f32_i32_e32 v122, v122                               // 000000011D04: 7EF40B7A
	v_cvt_f32_i32_e32 v123, v123                               // 000000011D08: 7EF60B7B
	v_cvt_f32_i32_e32 v124, v124                               // 000000011D0C: 7EF80B7C
	v_cvt_f32_i32_e32 v125, v125                               // 000000011D10: 7EFA0B7D
	v_cvt_f32_i32_e32 v126, v126                               // 000000011D14: 7EFC0B7E
	v_cvt_f32_i32_e32 v127, v127                               // 000000011D18: 7EFE0B7F
	v_mul_f32_e32 v112, v18, v112                              // 000000011D1C: 0AE0E112
	v_mul_f32_e32 v113, v18, v113                              // 000000011D20: 0AE2E312
	v_mul_f32_e32 v114, v18, v114                              // 000000011D24: 0AE4E512
	v_mul_f32_e32 v115, v18, v115                              // 000000011D28: 0AE6E712
	v_mul_f32_e32 v116, v18, v116                              // 000000011D2C: 0AE8E912
	v_mul_f32_e32 v117, v18, v117                              // 000000011D30: 0AEAEB12
	v_mul_f32_e32 v118, v18, v118                              // 000000011D34: 0AECED12
	v_mul_f32_e32 v119, v18, v119                              // 000000011D38: 0AEEEF12
	v_mul_f32_e32 v120, v18, v120                              // 000000011D3C: 0AF0F112
	v_mul_f32_e32 v121, v18, v121                              // 000000011D40: 0AF2F312
	v_mul_f32_e32 v122, v18, v122                              // 000000011D44: 0AF4F512
	v_mul_f32_e32 v123, v18, v123                              // 000000011D48: 0AF6F712
	v_mul_f32_e32 v124, v18, v124                              // 000000011D4C: 0AF8F912
	v_mul_f32_e32 v125, v18, v125                              // 000000011D50: 0AFAFB12
	v_mul_f32_e32 v126, v18, v126                              // 000000011D54: 0AFCFD12
	v_mul_f32_e32 v127, v18, v127                              // 000000011D58: 0AFEFF12
	buffer_load_dwordx4 a[48:51], v28, s[16:19], 0 offen       // 000000011D5C: E05C1000 8084301C
	v_mul_f32_dpp v112, v248, v112 quad_perm:[0,0,0,0] row_mask:0xf bank_mask:0xf// 000000011D64: 0AE0E0FA FF0000F8
	v_mul_f32_dpp v113, v248, v113 quad_perm:[1,1,1,1] row_mask:0xf bank_mask:0xf// 000000011D6C: 0AE2E2FA FF0055F8
	v_mul_f32_dpp v114, v248, v114 quad_perm:[2,2,2,2] row_mask:0xf bank_mask:0xf// 000000011D74: 0AE4E4FA FF00AAF8
	v_mul_f32_dpp v115, v248, v115 quad_perm:[3,3,3,3] row_mask:0xf bank_mask:0xf// 000000011D7C: 0AE6E6FA FF00FFF8
	v_mul_f32_dpp v116, v249, v116 quad_perm:[0,0,0,0] row_mask:0xf bank_mask:0xf// 000000011D84: 0AE8E8FA FF0000F9
	v_mul_f32_dpp v117, v249, v117 quad_perm:[1,1,1,1] row_mask:0xf bank_mask:0xf// 000000011D8C: 0AEAEAFA FF0055F9
	v_mul_f32_dpp v118, v249, v118 quad_perm:[2,2,2,2] row_mask:0xf bank_mask:0xf// 000000011D94: 0AECECFA FF00AAF9
	v_mul_f32_dpp v119, v249, v119 quad_perm:[3,3,3,3] row_mask:0xf bank_mask:0xf// 000000011D9C: 0AEEEEFA FF00FFF9
	v_mul_f32_dpp v120, v250, v120 quad_perm:[0,0,0,0] row_mask:0xf bank_mask:0xf// 000000011DA4: 0AF0F0FA FF0000FA
	v_mul_f32_dpp v121, v250, v121 quad_perm:[1,1,1,1] row_mask:0xf bank_mask:0xf// 000000011DAC: 0AF2F2FA FF0055FA
	v_mul_f32_dpp v122, v250, v122 quad_perm:[2,2,2,2] row_mask:0xf bank_mask:0xf// 000000011DB4: 0AF4F4FA FF00AAFA
	v_mul_f32_dpp v123, v250, v123 quad_perm:[3,3,3,3] row_mask:0xf bank_mask:0xf// 000000011DBC: 0AF6F6FA FF00FFFA
	v_mul_f32_dpp v124, v251, v124 quad_perm:[0,0,0,0] row_mask:0xf bank_mask:0xf// 000000011DC4: 0AF8F8FA FF0000FB
	v_mul_f32_dpp v125, v251, v125 quad_perm:[1,1,1,1] row_mask:0xf bank_mask:0xf// 000000011DCC: 0AFAFAFA FF0055FB
	v_mul_f32_dpp v126, v251, v126 quad_perm:[2,2,2,2] row_mask:0xf bank_mask:0xf// 000000011DD4: 0AFCFCFA FF00AAFB
	v_mul_f32_dpp v127, v251, v127 quad_perm:[3,3,3,3] row_mask:0xf bank_mask:0xf// 000000011DDC: 0AFEFEFA FF00FFFB
	buffer_load_dwordx4 a[52:55], v28, s[16:19], 0 offen offset:1024// 000000011DE4: E05C1400 8084341C
	s_cmp_le_i32 s90, s89                                      // 000000011DEC: BF05595A
	s_cbranch_scc1 label_3F6E                                  // 000000011DF0: BF850071
	v_mov_b32_e32 v66, 0xff800000                              // 000000011DF4: 7E8402FF FF800000
	s_mov_b32 s60, s90                                         // 000000011DFC: BEBC005A
	s_add_u32 s61, s89, 0xff                                   // 000000011E00: 803DFF59 000000FF
	v_mov_b32_e32 v64, s61                                     // 000000011E08: 7E80023D
	v_lshrrev_b32_e32 v240, 4, v0                              // 000000011E0C: 21E00084
	v_mul_i32_i24_e32 v240, 4, v240                            // 000000011E10: 0DE1E084
	v_add_u32_e32 v240, s60, v240                              // 000000011E14: 69E1E03C
	s_mov_b32 s61, 0                                           // 000000011E18: BEBD0080
	s_mul_i32 s60, 16, s7                                      // 000000011E1C: 923C0790
	v_sub_u32_e64 v240, v240, s61                              // 000000011E20: D13500F0 00007BF0
	v_add_u32_e32 v240, s60, v240                              // 000000011E28: 69E1E03C
	v_add_u32_e32 v241, 1, v240                                // 000000011E2C: 69E3E081
	v_add_u32_e32 v242, 2, v240                                // 000000011E30: 69E5E082
	v_add_u32_e32 v243, 3, v240                                // 000000011E34: 69E7E083
	v_cmp_le_u32_e64 s[40:41], v240, v64                       // 000000011E38: D0CB0028 000281F0
	v_add_u32_e32 v240, 64, v240                               // 000000011E40: 69E1E0C0
	s_nop 0                                                    // 000000011E44: BF800000
	v_cndmask_b32_e64 v112, v66, v112, s[40:41]                // 000000011E48: D1000070 00A2E142
	v_cmp_le_u32_e64 s[40:41], v241, v64                       // 000000011E50: D0CB0028 000281F1
	v_add_u32_e32 v241, 64, v241                               // 000000011E58: 69E3E2C0
	s_nop 0                                                    // 000000011E5C: BF800000
	v_cndmask_b32_e64 v113, v66, v113, s[40:41]                // 000000011E60: D1000071 00A2E342
	v_cmp_le_u32_e64 s[40:41], v242, v64                       // 000000011E68: D0CB0028 000281F2
	v_add_u32_e32 v242, 64, v242                               // 000000011E70: 69E5E4C0
	s_nop 0                                                    // 000000011E74: BF800000
	v_cndmask_b32_e64 v114, v66, v114, s[40:41]                // 000000011E78: D1000072 00A2E542
	v_cmp_le_u32_e64 s[40:41], v243, v64                       // 000000011E80: D0CB0028 000281F3
	v_add_u32_e32 v243, 64, v243                               // 000000011E88: 69E7E6C0
	s_nop 0                                                    // 000000011E8C: BF800000
	v_cndmask_b32_e64 v115, v66, v115, s[40:41]                // 000000011E90: D1000073 00A2E742
	v_cmp_le_u32_e64 s[40:41], v240, v64                       // 000000011E98: D0CB0028 000281F0
	v_add_u32_e32 v240, 64, v240                               // 000000011EA0: 69E1E0C0
	s_nop 0                                                    // 000000011EA4: BF800000
	v_cndmask_b32_e64 v116, v66, v116, s[40:41]                // 000000011EA8: D1000074 00A2E942
	v_cmp_le_u32_e64 s[40:41], v241, v64                       // 000000011EB0: D0CB0028 000281F1
	v_add_u32_e32 v241, 64, v241                               // 000000011EB8: 69E3E2C0
	s_nop 0                                                    // 000000011EBC: BF800000
	v_cndmask_b32_e64 v117, v66, v117, s[40:41]                // 000000011EC0: D1000075 00A2EB42
	v_cmp_le_u32_e64 s[40:41], v242, v64                       // 000000011EC8: D0CB0028 000281F2
	v_add_u32_e32 v242, 64, v242                               // 000000011ED0: 69E5E4C0
	s_nop 0                                                    // 000000011ED4: BF800000
	v_cndmask_b32_e64 v118, v66, v118, s[40:41]                // 000000011ED8: D1000076 00A2ED42
	v_cmp_le_u32_e64 s[40:41], v243, v64                       // 000000011EE0: D0CB0028 000281F3
	v_add_u32_e32 v243, 64, v243                               // 000000011EE8: 69E7E6C0
	s_nop 0                                                    // 000000011EEC: BF800000
	v_cndmask_b32_e64 v119, v66, v119, s[40:41]                // 000000011EF0: D1000077 00A2EF42
	v_cmp_le_u32_e64 s[40:41], v240, v64                       // 000000011EF8: D0CB0028 000281F0
	v_add_u32_e32 v240, 64, v240                               // 000000011F00: 69E1E0C0
	s_nop 0                                                    // 000000011F04: BF800000
	v_cndmask_b32_e64 v120, v66, v120, s[40:41]                // 000000011F08: D1000078 00A2F142
	v_cmp_le_u32_e64 s[40:41], v241, v64                       // 000000011F10: D0CB0028 000281F1
	v_add_u32_e32 v241, 64, v241                               // 000000011F18: 69E3E2C0
	s_nop 0                                                    // 000000011F1C: BF800000
	v_cndmask_b32_e64 v121, v66, v121, s[40:41]                // 000000011F20: D1000079 00A2F342
	v_cmp_le_u32_e64 s[40:41], v242, v64                       // 000000011F28: D0CB0028 000281F2
	v_add_u32_e32 v242, 64, v242                               // 000000011F30: 69E5E4C0
	s_nop 0                                                    // 000000011F34: BF800000
	v_cndmask_b32_e64 v122, v66, v122, s[40:41]                // 000000011F38: D100007A 00A2F542
	v_cmp_le_u32_e64 s[40:41], v243, v64                       // 000000011F40: D0CB0028 000281F3
	v_add_u32_e32 v243, 64, v243                               // 000000011F48: 69E7E6C0
	s_nop 0                                                    // 000000011F4C: BF800000
	v_cndmask_b32_e64 v123, v66, v123, s[40:41]                // 000000011F50: D100007B 00A2F742
	v_cmp_le_u32_e64 s[40:41], v240, v64                       // 000000011F58: D0CB0028 000281F0
	v_add_u32_e32 v240, 64, v240                               // 000000011F60: 69E1E0C0
	s_nop 0                                                    // 000000011F64: BF800000
	v_cndmask_b32_e64 v124, v66, v124, s[40:41]                // 000000011F68: D100007C 00A2F942
	v_cmp_le_u32_e64 s[40:41], v241, v64                       // 000000011F70: D0CB0028 000281F1
	v_add_u32_e32 v241, 64, v241                               // 000000011F78: 69E3E2C0
	s_nop 0                                                    // 000000011F7C: BF800000
	v_cndmask_b32_e64 v125, v66, v125, s[40:41]                // 000000011F80: D100007D 00A2FB42
	v_cmp_le_u32_e64 s[40:41], v242, v64                       // 000000011F88: D0CB0028 000281F2
	v_add_u32_e32 v242, 64, v242                               // 000000011F90: 69E5E4C0
	s_nop 0                                                    // 000000011F94: BF800000
	v_cndmask_b32_e64 v126, v66, v126, s[40:41]                // 000000011F98: D100007E 00A2FD42
	v_cmp_le_u32_e64 s[40:41], v243, v64                       // 000000011FA0: D0CB0028 000281F3
	v_add_u32_e32 v243, 64, v243                               // 000000011FA8: 69E7E6C0
	s_nop 0                                                    // 000000011FAC: BF800000
	v_cndmask_b32_e64 v127, v66, v127, s[40:41]                // 000000011FB0: D100007F 00A2FF42

0000000000011fb8 <label_3F6E>:
	v_mov_b32_e32 v48, v112                                    // 000000011FB8: 7E600370
	v_max3_f32 v48, v112, v113, v48                            // 000000011FBC: D1D30030 04C2E370
	v_max3_f32 v48, v114, v115, v48                            // 000000011FC4: D1D30030 04C2E772
	v_max3_f32 v48, v116, v117, v48                            // 000000011FCC: D1D30030 04C2EB74
	v_max3_f32 v48, v118, v119, v48                            // 000000011FD4: D1D30030 04C2EF76
	v_max3_f32 v48, v120, v121, v48                            // 000000011FDC: D1D30030 04C2F378
	v_max3_f32 v48, v122, v123, v48                            // 000000011FE4: D1D30030 04C2F77A
	v_max3_f32 v48, v124, v125, v48                            // 000000011FEC: D1D30030 04C2FB7C
	v_max3_f32 v48, v126, v127, v48                            // 000000011FF4: D1D30030 04C2FF7E
	ds_write_b32 v8, v48 offset:16896                          // 000000011FFC: D81A4200 00003008
	buffer_load_dwordx4 a[56:59], v29, s[16:19], 0 offen       // 000000012004: E05C1000 8084381D
	v_mul_u32_u24_dpp v64, v17, v54 row_newbcast:1 row_mask:0xf bank_mask:0xf// 00000001200C: 10806CFA FF015111
	v_mul_u32_u24_dpp v65, v17, v54 row_newbcast:5 row_mask:0xf bank_mask:0xf// 000000012014: 10826CFA FF015511
	v_mul_u32_u24_dpp v66, v17, v54 row_newbcast:9 row_mask:0xf bank_mask:0xf// 00000001201C: 10846CFA FF015911
	v_mul_u32_u24_dpp v67, v17, v54 row_newbcast:13 row_mask:0xf bank_mask:0xf// 000000012024: 10866CFA FF015D11
	v_add_u32_e32 v34, v64, v6                                 // 00000001202C: 68440D40
	v_add_u32_e32 v35, v65, v6                                 // 000000012030: 68460D41
	v_add_u32_e32 v36, v66, v6                                 // 000000012034: 68480D42
	v_add_u32_e32 v37, v67, v6                                 // 000000012038: 684A0D43
	v_mul_f32_e32 v208, v49, v208                              // 00000001203C: 0BA1A131
	v_mul_f32_e32 v209, v49, v209                              // 000000012040: 0BA3A331
	v_mul_f32_e32 v210, v49, v210                              // 000000012044: 0BA5A531
	v_mul_f32_e32 v211, v49, v211                              // 000000012048: 0BA7A731
	v_mul_f32_e32 v212, v49, v212                              // 00000001204C: 0BA9A931
	v_mul_f32_e32 v213, v49, v213                              // 000000012050: 0BABAB31
	v_mul_f32_e32 v214, v49, v214                              // 000000012054: 0BADAD31
	v_mul_f32_e32 v215, v49, v215                              // 000000012058: 0BAFAF31
	s_waitcnt lgkmcnt(0)                                       // 00000001205C: BF8CC07F
	s_barrier                                                  // 000000012060: BF8A0000
	ds_read_b32 v64, v7 offset:16896                           // 000000012064: D86C4200 40000007
	ds_read_b32 v65, v7 offset:16960                           // 00000001206C: D86C4240 41000007
	ds_read_b32 v66, v7 offset:17024                           // 000000012074: D86C4280 42000007
	ds_read_b32 v67, v7 offset:17088                           // 00000001207C: D86C42C0 43000007
	ds_read_b32 v68, v7 offset:17152                           // 000000012084: D86C4300 44000007
	ds_read_b32 v69, v7 offset:17216                           // 00000001208C: D86C4340 45000007
	ds_read_b32 v70, v7 offset:17280                           // 000000012094: D86C4380 46000007
	ds_read_b32 v71, v7 offset:17344                           // 00000001209C: D86C43C0 47000007
	ds_read_b32 v72, v7 offset:17408                           // 0000000120A4: D86C4400 48000007
	ds_read_b32 v73, v7 offset:17472                           // 0000000120AC: D86C4440 49000007
	ds_read_b32 v74, v7 offset:17536                           // 0000000120B4: D86C4480 4A000007
	ds_read_b32 v75, v7 offset:17600                           // 0000000120BC: D86C44C0 4B000007
	ds_read_b32 v76, v7 offset:17664                           // 0000000120C4: D86C4500 4C000007
	ds_read_b32 v77, v7 offset:17728                           // 0000000120CC: D86C4540 4D000007
	ds_read_b32 v78, v7 offset:17792                           // 0000000120D4: D86C4580 4E000007
	ds_read_b32 v79, v7 offset:17856                           // 0000000120DC: D86C45C0 4F000007
	buffer_load_dwordx4 a[60:63], v29, s[16:19], 0 offen offset:1024// 0000000120E4: E05C1400 80843C1D
	v_cvt_f32_i32_e32 v176, v176                               // 0000000120EC: 7F600BB0
	v_cvt_f32_i32_e32 v177, v177                               // 0000000120F0: 7F620BB1
	v_cvt_f32_i32_e32 v178, v178                               // 0000000120F4: 7F640BB2
	v_cvt_f32_i32_e32 v179, v179                               // 0000000120F8: 7F660BB3
	v_cvt_f32_i32_e32 v180, v180                               // 0000000120FC: 7F680BB4
	v_cvt_f32_i32_e32 v181, v181                               // 000000012100: 7F6A0BB5
	v_cvt_f32_i32_e32 v182, v182                               // 000000012104: 7F6C0BB6
	v_cvt_f32_i32_e32 v183, v183                               // 000000012108: 7F6E0BB7
	v_mul_f32_e32 v176, v44, v176                              // 00000001210C: 0B61612C
	v_mul_f32_e32 v177, v44, v177                              // 000000012110: 0B63632C
	v_mul_f32_e32 v178, v44, v178                              // 000000012114: 0B65652C
	v_mul_f32_e32 v179, v44, v179                              // 000000012118: 0B67672C
	v_mul_f32_e32 v180, v44, v180                              // 00000001211C: 0B69692C
	v_mul_f32_e32 v181, v44, v181                              // 000000012120: 0B6B6B2C
	v_mul_f32_e32 v182, v44, v182                              // 000000012124: 0B6D6D2C
	v_mul_f32_e32 v183, v44, v183                              // 000000012128: 0B6F6F2C
	s_waitcnt lgkmcnt(0)                                       // 00000001212C: BF8CC07F
	v_max3_f32 v48, v64, v65, v48                              // 000000012130: D1D30030 04C28340
	v_max3_f32 v48, v66, v67, v48                              // 000000012138: D1D30030 04C28742
	v_max3_f32 v48, v68, v69, v48                              // 000000012140: D1D30030 04C28B44
	v_max3_f32 v48, v70, v71, v48                              // 000000012148: D1D30030 04C28F46
	v_max3_f32 v48, v72, v73, v48                              // 000000012150: D1D30030 04C29348
	v_max3_f32 v48, v74, v75, v48                              // 000000012158: D1D30030 04C2974A
	v_max3_f32 v48, v76, v77, v48                              // 000000012160: D1D30030 04C29B4C
	v_max3_f32 v48, v78, v79, v48                              // 000000012168: D1D30030 04C29F4E
	buffer_load_dwordx4 a[96:99], v34, s[20:23], 0 offen       // 000000012170: E05C1000 80856022
	v_mov_b32_e32 v64, 0xff800000                              // 000000012178: 7E8002FF FF800000
	v_cmp_eq_u32_e64 s[40:41], v64, v11                        // 000000012180: D0CA0028 00021740
	s_nop 1                                                    // 000000012188: BF800001
	v_max_f32_e32 v15, v48, v11                                // 00000001218C: 161E1730
	v_mul_f32_e32 v53, s64, v15                                // 000000012190: 0A6A1E40
	v_fma_f32 v112, v112, s64, -v53                            // 000000012194: D1CB0070 84D48170
	v_fma_f32 v113, v113, s64, -v53                            // 00000001219C: D1CB0071 84D48171
	v_fma_f32 v114, v114, s64, -v53                            // 0000000121A4: D1CB0072 84D48172
	v_fma_f32 v115, v115, s64, -v53                            // 0000000121AC: D1CB0073 84D48173
	v_fma_f32 v116, v116, s64, -v53                            // 0000000121B4: D1CB0074 84D48174
	v_fma_f32 v117, v117, s64, -v53                            // 0000000121BC: D1CB0075 84D48175
	v_fma_f32 v118, v118, s64, -v53                            // 0000000121C4: D1CB0076 84D48176
	v_fma_f32 v119, v119, s64, -v53                            // 0000000121CC: D1CB0077 84D48177
	v_fma_f32 v120, v120, s64, -v53                            // 0000000121D4: D1CB0078 84D48178
	v_fma_f32 v121, v121, s64, -v53                            // 0000000121DC: D1CB0079 84D48179
	v_fma_f32 v122, v122, s64, -v53                            // 0000000121E4: D1CB007A 84D4817A
	v_fma_f32 v123, v123, s64, -v53                            // 0000000121EC: D1CB007B 84D4817B
	v_fma_f32 v124, v124, s64, -v53                            // 0000000121F4: D1CB007C 84D4817C
	v_fma_f32 v125, v125, s64, -v53                            // 0000000121FC: D1CB007D 84D4817D
	v_fma_f32 v126, v126, s64, -v53                            // 000000012204: D1CB007E 84D4817E
	v_fma_f32 v127, v127, s64, -v53                            // 00000001220C: D1CB007F 84D4817F
	buffer_load_dwordx4 a[100:103], v35, s[20:23], 0 offen     // 000000012214: E05C1000 80856423
	v_exp_f32_e32 v112, v112                                   // 00000001221C: 7EE04170
	v_exp_f32_e32 v113, v113                                   // 000000012220: 7EE24171
	v_exp_f32_e32 v114, v114                                   // 000000012224: 7EE44172
	v_exp_f32_e32 v115, v115                                   // 000000012228: 7EE64173
	v_exp_f32_e32 v116, v116                                   // 00000001222C: 7EE84174
	v_exp_f32_e32 v117, v117                                   // 000000012230: 7EEA4175
	v_exp_f32_e32 v118, v118                                   // 000000012234: 7EEC4176
	v_exp_f32_e32 v119, v119                                   // 000000012238: 7EEE4177
	v_exp_f32_e32 v120, v120                                   // 00000001223C: 7EF04178
	v_exp_f32_e32 v121, v121                                   // 000000012240: 7EF24179
	v_exp_f32_e32 v122, v122                                   // 000000012244: 7EF4417A
	v_exp_f32_e32 v123, v123                                   // 000000012248: 7EF6417B
	v_exp_f32_e32 v124, v124                                   // 00000001224C: 7EF8417C
	v_exp_f32_e32 v125, v125                                   // 000000012250: 7EFA417D
	v_exp_f32_e32 v126, v126                                   // 000000012254: 7EFC417E
	v_exp_f32_e32 v127, v127                                   // 000000012258: 7EFE417F
	buffer_load_dwordx4 a[104:107], v36, s[20:23], 0 offen     // 00000001225C: E05C1000 80856824
	v_mul_f32_dpp v240, v252, v112 quad_perm:[0,0,0,0] row_mask:0xf bank_mask:0xf// 000000012264: 0BE0E0FA FF0000FC
	v_mul_f32_dpp v241, v252, v113 quad_perm:[1,1,1,1] row_mask:0xf bank_mask:0xf// 00000001226C: 0BE2E2FA FF0055FC
	v_mul_f32_dpp v242, v252, v114 quad_perm:[2,2,2,2] row_mask:0xf bank_mask:0xf// 000000012274: 0BE4E4FA FF00AAFC
	v_mul_f32_dpp v243, v252, v115 quad_perm:[3,3,3,3] row_mask:0xf bank_mask:0xf// 00000001227C: 0BE6E6FA FF00FFFC
	v_mul_f32_dpp v244, v253, v116 quad_perm:[0,0,0,0] row_mask:0xf bank_mask:0xf// 000000012284: 0BE8E8FA FF0000FD
	v_mul_f32_dpp v245, v253, v117 quad_perm:[1,1,1,1] row_mask:0xf bank_mask:0xf// 00000001228C: 0BEAEAFA FF0055FD
	v_mul_f32_dpp v246, v253, v118 quad_perm:[2,2,2,2] row_mask:0xf bank_mask:0xf// 000000012294: 0BECECFA FF00AAFD
	v_mul_f32_dpp v247, v253, v119 quad_perm:[3,3,3,3] row_mask:0xf bank_mask:0xf// 00000001229C: 0BEEEEFA FF00FFFD
	v_mul_f32_dpp v248, v254, v120 quad_perm:[0,0,0,0] row_mask:0xf bank_mask:0xf// 0000000122A4: 0BF0F0FA FF0000FE
	v_mul_f32_dpp v249, v254, v121 quad_perm:[1,1,1,1] row_mask:0xf bank_mask:0xf// 0000000122AC: 0BF2F2FA FF0055FE
	v_mul_f32_dpp v250, v254, v122 quad_perm:[2,2,2,2] row_mask:0xf bank_mask:0xf// 0000000122B4: 0BF4F4FA FF00AAFE
	v_mul_f32_dpp v251, v254, v123 quad_perm:[3,3,3,3] row_mask:0xf bank_mask:0xf// 0000000122BC: 0BF6F6FA FF00FFFE
	v_mul_f32_dpp v252, v255, v124 quad_perm:[0,0,0,0] row_mask:0xf bank_mask:0xf// 0000000122C4: 0BF8F8FA FF0000FF
	v_mul_f32_dpp v253, v255, v125 quad_perm:[1,1,1,1] row_mask:0xf bank_mask:0xf// 0000000122CC: 0BFAFAFA FF0055FF
	v_mul_f32_dpp v254, v255, v126 quad_perm:[2,2,2,2] row_mask:0xf bank_mask:0xf// 0000000122D4: 0BFCFCFA FF00AAFF
	v_mul_f32_dpp v255, v255, v127 quad_perm:[3,3,3,3] row_mask:0xf bank_mask:0xf// 0000000122DC: 0BFEFEFA FF00FFFF
	v_mov_b32_e32 v48, 0x358637bd                              // 0000000122E4: 7E6002FF 358637BD
	v_max3_f32 v48, |v240|, |v241|, v48                        // 0000000122EC: D1D30330 04C3E3F0
	v_max3_f32 v48, |v242|, |v243|, v48                        // 0000000122F4: D1D30330 04C3E7F2
	v_max3_f32 v48, |v244|, |v245|, v48                        // 0000000122FC: D1D30330 04C3EBF4
	v_max3_f32 v48, |v246|, |v247|, v48                        // 000000012304: D1D30330 04C3EFF6
	v_max3_f32 v48, |v248|, |v249|, v48                        // 00000001230C: D1D30330 04C3F3F8
	v_max3_f32 v48, |v250|, |v251|, v48                        // 000000012314: D1D30330 04C3F7FA
	v_max3_f32 v48, |v252|, |v253|, v48                        // 00000001231C: D1D30330 04C3FBFC
	v_max3_f32 v48, |v254|, |v255|, v48                        // 000000012324: D1D30330 04C3FFFE
	buffer_load_dwordx4 a[108:111], v37, s[20:23], 0 offen     // 00000001232C: E05C1000 80856C25
	ds_write_b32 v8, v48 offset:20992                          // 000000012334: D81A5200 00003008
	v_sub_f32_e32 v49, v11, v15                                // 00000001233C: 04621F0B
	v_cndmask_b32_e64 v49, v49, 0, s[40:41]                    // 000000012340: D1000031 00A10131
	v_mov_b32_e32 v11, v15                                     // 000000012348: 7E16030F
	v_mul_f32_e32 v49, s64, v49                                // 00000001234C: 0A626240
	v_exp_f32_e32 v49, v49                                     // 000000012350: 7E624131
	s_waitcnt lgkmcnt(0)                                       // 000000012354: BF8CC07F
	s_barrier                                                  // 000000012358: BF8A0000
	ds_read_b32 v64, v7 offset:20992                           // 00000001235C: D86C5200 40000007
	ds_read_b32 v65, v7 offset:21056                           // 000000012364: D86C5240 41000007
	ds_read_b32 v66, v7 offset:21120                           // 00000001236C: D86C5280 42000007
	ds_read_b32 v67, v7 offset:21184                           // 000000012374: D86C52C0 43000007
	ds_read_b32 v68, v7 offset:21248                           // 00000001237C: D86C5300 44000007
	ds_read_b32 v69, v7 offset:21312                           // 000000012384: D86C5340 45000007
	ds_read_b32 v70, v7 offset:21376                           // 00000001238C: D86C5380 46000007
	ds_read_b32 v71, v7 offset:21440                           // 000000012394: D86C53C0 47000007
	ds_read_b32 v72, v7 offset:21504                           // 00000001239C: D86C5400 48000007
	ds_read_b32 v73, v7 offset:21568                           // 0000000123A4: D86C5440 49000007
	ds_read_b32 v74, v7 offset:21632                           // 0000000123AC: D86C5480 4A000007
	ds_read_b32 v75, v7 offset:21696                           // 0000000123B4: D86C54C0 4B000007
	ds_read_b32 v76, v7 offset:21760                           // 0000000123BC: D86C5500 4C000007
	ds_read_b32 v77, v7 offset:21824                           // 0000000123C4: D86C5540 4D000007
	ds_read_b32 v78, v7 offset:21888                           // 0000000123CC: D86C5580 4E000007
	ds_read_b32 v79, v7 offset:21952                           // 0000000123D4: D86C55C0 4F000007
	v_mul_f32_e32 v38, v49, v38                                // 0000000123DC: 0A4C4D31
	v_mov_b32_e32 v15, v112                                    // 0000000123E0: 7E1E0370
	v_add_f32_e32 v15, v113, v15                               // 0000000123E4: 021E1F71
	v_add_f32_e32 v15, v114, v15                               // 0000000123E8: 021E1F72
	v_add_f32_e32 v15, v115, v15                               // 0000000123EC: 021E1F73
	v_add_f32_e32 v15, v116, v15                               // 0000000123F0: 021E1F74
	v_add_f32_e32 v15, v117, v15                               // 0000000123F4: 021E1F75
	v_add_f32_e32 v15, v118, v15                               // 0000000123F8: 021E1F76
	v_add_f32_e32 v15, v119, v15                               // 0000000123FC: 021E1F77
	v_add_f32_e32 v15, v120, v15                               // 000000012400: 021E1F78
	v_add_f32_e32 v15, v121, v15                               // 000000012404: 021E1F79
	v_add_f32_e32 v15, v122, v15                               // 000000012408: 021E1F7A
	v_add_f32_e32 v15, v123, v15                               // 00000001240C: 021E1F7B
	v_add_f32_e32 v15, v124, v15                               // 000000012410: 021E1F7C
	v_add_f32_e32 v15, v125, v15                               // 000000012414: 021E1F7D
	v_add_f32_e32 v15, v126, v15                               // 000000012418: 021E1F7E
	v_add_f32_e32 v15, v127, v15                               // 00000001241C: 021E1F7F
	v_add_f32_e32 v38, v15, v38                                // 000000012420: 024C4D0F
	s_waitcnt lgkmcnt(0)                                       // 000000012424: BF8CC07F
	v_max3_f32 v48, |v64|, |v65|, v48                          // 000000012428: D1D30330 04C28340
	v_max3_f32 v48, |v66|, |v67|, v48                          // 000000012430: D1D30330 04C28742
	v_max3_f32 v48, |v68|, |v69|, v48                          // 000000012438: D1D30330 04C28B44
	v_max3_f32 v48, |v70|, |v71|, v48                          // 000000012440: D1D30330 04C28F46
	v_max3_f32 v48, |v72|, |v73|, v48                          // 000000012448: D1D30330 04C29348
	v_max3_f32 v48, |v74|, |v75|, v48                          // 000000012450: D1D30330 04C2974A
	v_max3_f32 v48, |v76|, |v77|, v48                          // 000000012458: D1D30330 04C29B4C
	v_max3_f32 v48, |v78|, |v79|, v48                          // 000000012460: D1D30330 04C29F4E
	s_nop 2                                                    // 000000012468: BF800002
	v_rcp_f32_e32 v48, v48                                     // 00000001246C: 7E604530
	s_nop 1                                                    // 000000012470: BF800001
	v_mul_f32_e32 v48, 0x42fe0000, v48                         // 000000012474: 0A6060FF 42FE0000
	v_mul_f32_e32 v112, v48, v240                              // 00000001247C: 0AE1E130
	v_mul_f32_e32 v113, v48, v241                              // 000000012480: 0AE3E330
	v_mul_f32_e32 v114, v48, v242                              // 000000012484: 0AE5E530
	v_mul_f32_e32 v115, v48, v243                              // 000000012488: 0AE7E730
	v_mul_f32_e32 v116, v48, v244                              // 00000001248C: 0AE9E930
	v_mul_f32_e32 v117, v48, v245                              // 000000012490: 0AEBEB30
	v_mul_f32_e32 v118, v48, v246                              // 000000012494: 0AEDED30
	v_mul_f32_e32 v119, v48, v247                              // 000000012498: 0AEFEF30
	v_mul_f32_e32 v120, v48, v248                              // 00000001249C: 0AF1F130
	v_mul_f32_e32 v121, v48, v249                              // 0000000124A0: 0AF3F330
	v_mul_f32_e32 v122, v48, v250                              // 0000000124A4: 0AF5F530
	v_mul_f32_e32 v123, v48, v251                              // 0000000124A8: 0AF7F730
	v_mul_f32_e32 v124, v48, v252                              // 0000000124AC: 0AF9F930
	v_mul_f32_e32 v125, v48, v253                              // 0000000124B0: 0AFBFB30
	v_mul_f32_e32 v126, v48, v254                              // 0000000124B4: 0AFDFD30
	v_mul_f32_e32 v127, v48, v255                              // 0000000124B8: 0AFFFF30
	v_cvt_i32_f32_e32 v112, v112                               // 0000000124BC: 7EE01170
	v_cvt_i32_f32_e32 v113, v113                               // 0000000124C0: 7EE21171
	v_cvt_i32_f32_e32 v114, v114                               // 0000000124C4: 7EE41172
	v_cvt_i32_f32_e32 v115, v115                               // 0000000124C8: 7EE61173
	v_cvt_i32_f32_e32 v116, v116                               // 0000000124CC: 7EE81174
	v_cvt_i32_f32_e32 v117, v117                               // 0000000124D0: 7EEA1175
	v_cvt_i32_f32_e32 v118, v118                               // 0000000124D4: 7EEC1176
	v_cvt_i32_f32_e32 v119, v119                               // 0000000124D8: 7EEE1177
	v_cvt_i32_f32_e32 v120, v120                               // 0000000124DC: 7EF01178
	v_cvt_i32_f32_e32 v121, v121                               // 0000000124E0: 7EF21179
	v_cvt_i32_f32_e32 v122, v122                               // 0000000124E4: 7EF4117A
	v_cvt_i32_f32_e32 v123, v123                               // 0000000124E8: 7EF6117B
	v_cvt_i32_f32_e32 v124, v124                               // 0000000124EC: 7EF8117C
	v_cvt_i32_f32_e32 v125, v125                               // 0000000124F0: 7EFA117D
	v_cvt_i32_f32_e32 v126, v126                               // 0000000124F4: 7EFC117E
	v_cvt_i32_f32_e32 v127, v127                               // 0000000124F8: 7EFE117F
	v_perm_b32 v112, v113, v112, s53                           // 0000000124FC: D1ED0070 00D6E171
	v_perm_b32 v112, v114, v112, s54                           // 000000012504: D1ED0070 00DAE172
	v_perm_b32 v112, v115, v112, s55                           // 00000001250C: D1ED0070 00DEE173
	v_perm_b32 v113, v117, v116, s53                           // 000000012514: D1ED0071 00D6E975
	v_perm_b32 v113, v118, v113, s54                           // 00000001251C: D1ED0071 00DAE376
	v_perm_b32 v113, v119, v113, s55                           // 000000012524: D1ED0071 00DEE377
	v_perm_b32 v114, v121, v120, s53                           // 00000001252C: D1ED0072 00D6F179
	v_perm_b32 v114, v122, v114, s54                           // 000000012534: D1ED0072 00DAE57A
	v_perm_b32 v114, v123, v114, s55                           // 00000001253C: D1ED0072 00DEE57B
	v_perm_b32 v115, v125, v124, s53                           // 000000012544: D1ED0073 00D6F97D
	v_perm_b32 v115, v126, v115, s54                           // 00000001254C: D1ED0073 00DAE77E
	v_perm_b32 v115, v127, v115, s55                           // 000000012554: D1ED0073 00DEE77F
	ds_write_b32 v10, v112 offset:25088                        // 00000001255C: D81A6200 0000700A
	ds_write_b32 v10, v113 offset:26112                        // 000000012564: D81A6600 0000710A
	ds_write_b32 v10, v114 offset:27136                        // 00000001256C: D81A6A00 0000720A
	ds_write_b32 v10, v115 offset:28160                        // 000000012574: D81A6E00 0000730A
	v_add_f32_e32 v208, v208, v176                             // 00000001257C: 03A161D0
	v_add_f32_e32 v209, v209, v177                             // 000000012580: 03A363D1
	v_add_f32_e32 v210, v210, v178                             // 000000012584: 03A565D2
	v_add_f32_e32 v211, v211, v179                             // 000000012588: 03A767D3
	v_add_f32_e32 v212, v212, v180                             // 00000001258C: 03A969D4
	v_add_f32_e32 v213, v213, v181                             // 000000012590: 03AB6BD5
	v_add_f32_e32 v214, v214, v182                             // 000000012594: 03AD6DD6
	v_add_f32_e32 v215, v215, v183                             // 000000012598: 03AF6FD7
	v_rcp_f32_e32 v44, v48                                     // 00000001259C: 7E584530
	s_waitcnt lgkmcnt(0)                                       // 0000000125A0: BF8CC07F
	s_barrier                                                  // 0000000125A4: BF8A0000
	ds_read_b64 v[112:113], v9 offset:25088                    // 0000000125A8: D8EC6200 70000009
	ds_read_b64 v[114:115], v9 offset:25216                    // 0000000125B0: D8EC6280 72000009
	ds_read_b64 v[116:117], v9 offset:26112                    // 0000000125B8: D8EC6600 74000009
	ds_read_b64 v[118:119], v9 offset:26240                    // 0000000125C0: D8EC6680 76000009
	ds_read_b64 v[120:121], v9 offset:27136                    // 0000000125C8: D8EC6A00 78000009
	ds_read_b64 v[122:123], v9 offset:27264                    // 0000000125D0: D8EC6A80 7A000009
	ds_read_b64 v[124:125], v9 offset:28160                    // 0000000125D8: D8EC6E00 7C000009
	ds_read_b64 v[126:127], v9 offset:28288                    // 0000000125E0: D8EC6E80 7E000009
	v_mov_b32_dpp v64, v42 row_shr:4 row_mask:0xf bank_mask:0xf// 0000000125E8: 7E8002FA FF01142A
	v_mov_b32_dpp v65, v42 row_shl:4 row_mask:0xf bank_mask:0xf// 0000000125F0: 7E8202FA FF01042A
	v_cndmask_b32_e64 v248, v42, v64, s[44:45]                 // 0000000125F8: D10000F8 00B2812A
	v_cndmask_b32_e64 v249, v65, v42, s[44:45]                 // 000000012600: D10000F9 00B25541
	v_mov_b32_dpp v64, v248 row_shr:8 row_mask:0xf bank_mask:0xf// 000000012608: 7E8002FA FF0118F8
	v_mov_b32_dpp v65, v248 row_shl:8 row_mask:0xf bank_mask:0xf// 000000012610: 7E8202FA FF0108F8
	v_mov_b32_dpp v66, v249 row_shr:8 row_mask:0xf bank_mask:0xf// 000000012618: 7E8402FA FF0118F9
	v_mov_b32_dpp v67, v249 row_shl:8 row_mask:0xf bank_mask:0xf// 000000012620: 7E8602FA FF0108F9
	v_mov_b32_e32 v68, v248                                    // 000000012628: 7E8803F8
	v_mov_b32_e32 v69, v249                                    // 00000001262C: 7E8A03F9
	v_cndmask_b32_e64 v248, v68, v64, s[42:43]                 // 000000012630: D10000F8 00AA8144
	v_cndmask_b32_e64 v250, v68, v65, s[78:79]                 // 000000012638: D10000FA 013A8344
	v_cndmask_b32_e64 v249, v69, v66, s[42:43]                 // 000000012640: D10000F9 00AA8545
	v_cndmask_b32_e64 v251, v69, v67, s[78:79]                 // 000000012648: D10000FB 013A8745
	v_mov_b32_dpp v64, v57 row_shr:4 row_mask:0xf bank_mask:0xf// 000000012650: 7E8002FA FF011439
	v_mov_b32_dpp v65, v57 row_shl:4 row_mask:0xf bank_mask:0xf// 000000012658: 7E8202FA FF010439
	v_cndmask_b32_e64 v252, v57, v64, s[44:45]                 // 000000012660: D10000FC 00B28139
	v_cndmask_b32_e64 v253, v65, v57, s[44:45]                 // 000000012668: D10000FD 00B27341
	v_mov_b32_dpp v64, v252 row_shr:8 row_mask:0xf bank_mask:0xf// 000000012670: 7E8002FA FF0118FC
	v_mov_b32_dpp v65, v252 row_shl:8 row_mask:0xf bank_mask:0xf// 000000012678: 7E8202FA FF0108FC
	v_mov_b32_dpp v66, v253 row_shr:8 row_mask:0xf bank_mask:0xf// 000000012680: 7E8402FA FF0118FD
	v_mov_b32_dpp v67, v253 row_shl:8 row_mask:0xf bank_mask:0xf// 000000012688: 7E8602FA FF0108FD
	v_mov_b32_e32 v68, v252                                    // 000000012690: 7E8803FC
	v_mov_b32_e32 v69, v253                                    // 000000012694: 7E8A03FD
	v_cndmask_b32_e64 v252, v68, v64, s[42:43]                 // 000000012698: D10000FC 00AA8144
	v_cndmask_b32_e64 v254, v68, v65, s[78:79]                 // 0000000126A0: D10000FE 013A8344
	v_cndmask_b32_e64 v253, v69, v66, s[42:43]                 // 0000000126A8: D10000FD 00AA8545
	v_cndmask_b32_e64 v255, v69, v67, s[78:79]                 // 0000000126B0: D10000FF 013A8745
	v_cvt_f32_i32_e32 v128, v128                               // 0000000126B8: 7F000B80
	v_cvt_f32_i32_e32 v129, v129                               // 0000000126BC: 7F020B81
	v_cvt_f32_i32_e32 v130, v130                               // 0000000126C0: 7F040B82
	v_cvt_f32_i32_e32 v131, v131                               // 0000000126C4: 7F060B83
	v_cvt_f32_i32_e32 v132, v132                               // 0000000126C8: 7F080B84
	v_cvt_f32_i32_e32 v133, v133                               // 0000000126CC: 7F0A0B85
	v_cvt_f32_i32_e32 v134, v134                               // 0000000126D0: 7F0C0B86
	v_cvt_f32_i32_e32 v135, v135                               // 0000000126D4: 7F0E0B87
	v_cvt_f32_i32_e32 v136, v136                               // 0000000126D8: 7F100B88
	v_cvt_f32_i32_e32 v137, v137                               // 0000000126DC: 7F120B89
	v_cvt_f32_i32_e32 v138, v138                               // 0000000126E0: 7F140B8A
	v_cvt_f32_i32_e32 v139, v139                               // 0000000126E4: 7F160B8B
	v_cvt_f32_i32_e32 v140, v140                               // 0000000126E8: 7F180B8C
	v_cvt_f32_i32_e32 v141, v141                               // 0000000126EC: 7F1A0B8D
	v_cvt_f32_i32_e32 v142, v142                               // 0000000126F0: 7F1C0B8E
	v_cvt_f32_i32_e32 v143, v143                               // 0000000126F4: 7F1E0B8F
	v_mul_f32_e32 v128, v19, v128                              // 0000000126F8: 0B010113
	v_mul_f32_e32 v129, v19, v129                              // 0000000126FC: 0B030313
	v_mul_f32_e32 v130, v19, v130                              // 000000012700: 0B050513
	v_mul_f32_e32 v131, v19, v131                              // 000000012704: 0B070713
	v_mul_f32_e32 v132, v19, v132                              // 000000012708: 0B090913
	v_mul_f32_e32 v133, v19, v133                              // 00000001270C: 0B0B0B13
	v_mul_f32_e32 v134, v19, v134                              // 000000012710: 0B0D0D13
	v_mul_f32_e32 v135, v19, v135                              // 000000012714: 0B0F0F13
	v_mul_f32_e32 v136, v19, v136                              // 000000012718: 0B111113
	v_mul_f32_e32 v137, v19, v137                              // 00000001271C: 0B131313
	v_mul_f32_e32 v138, v19, v138                              // 000000012720: 0B151513
	v_mul_f32_e32 v139, v19, v139                              // 000000012724: 0B171713
	v_mul_f32_e32 v140, v19, v140                              // 000000012728: 0B191913
	v_mul_f32_e32 v141, v19, v141                              // 00000001272C: 0B1B1B13
	v_mul_f32_e32 v142, v19, v142                              // 000000012730: 0B1D1D13
	v_mul_f32_e32 v143, v19, v143                              // 000000012734: 0B1F1F13
	v_mul_f32_dpp v128, v248, v128 quad_perm:[0,0,0,0] row_mask:0xf bank_mask:0xf// 000000012738: 0B0100FA FF0000F8
	v_mul_f32_dpp v129, v248, v129 quad_perm:[1,1,1,1] row_mask:0xf bank_mask:0xf// 000000012740: 0B0302FA FF0055F8
	v_mul_f32_dpp v130, v248, v130 quad_perm:[2,2,2,2] row_mask:0xf bank_mask:0xf// 000000012748: 0B0504FA FF00AAF8
	v_mul_f32_dpp v131, v248, v131 quad_perm:[3,3,3,3] row_mask:0xf bank_mask:0xf// 000000012750: 0B0706FA FF00FFF8
	v_mul_f32_dpp v132, v249, v132 quad_perm:[0,0,0,0] row_mask:0xf bank_mask:0xf// 000000012758: 0B0908FA FF0000F9
	v_mul_f32_dpp v133, v249, v133 quad_perm:[1,1,1,1] row_mask:0xf bank_mask:0xf// 000000012760: 0B0B0AFA FF0055F9
	v_mul_f32_dpp v134, v249, v134 quad_perm:[2,2,2,2] row_mask:0xf bank_mask:0xf// 000000012768: 0B0D0CFA FF00AAF9
	v_mul_f32_dpp v135, v249, v135 quad_perm:[3,3,3,3] row_mask:0xf bank_mask:0xf// 000000012770: 0B0F0EFA FF00FFF9
	v_mul_f32_dpp v136, v250, v136 quad_perm:[0,0,0,0] row_mask:0xf bank_mask:0xf// 000000012778: 0B1110FA FF0000FA
	v_mul_f32_dpp v137, v250, v137 quad_perm:[1,1,1,1] row_mask:0xf bank_mask:0xf// 000000012780: 0B1312FA FF0055FA
	v_mul_f32_dpp v138, v250, v138 quad_perm:[2,2,2,2] row_mask:0xf bank_mask:0xf// 000000012788: 0B1514FA FF00AAFA
	v_mul_f32_dpp v139, v250, v139 quad_perm:[3,3,3,3] row_mask:0xf bank_mask:0xf// 000000012790: 0B1716FA FF00FFFA
	v_mul_f32_dpp v140, v251, v140 quad_perm:[0,0,0,0] row_mask:0xf bank_mask:0xf// 000000012798: 0B1918FA FF0000FB
	v_mul_f32_dpp v141, v251, v141 quad_perm:[1,1,1,1] row_mask:0xf bank_mask:0xf// 0000000127A0: 0B1B1AFA FF0055FB
	v_mul_f32_dpp v142, v251, v142 quad_perm:[2,2,2,2] row_mask:0xf bank_mask:0xf// 0000000127A8: 0B1D1CFA FF00AAFB
	v_mul_f32_dpp v143, v251, v143 quad_perm:[3,3,3,3] row_mask:0xf bank_mask:0xf// 0000000127B0: 0B1F1EFA FF00FFFB
	s_cmp_le_i32 s90, s89                                      // 0000000127B8: BF05595A
	s_cbranch_scc1 label_41E1                                  // 0000000127BC: BF850071
	v_mov_b32_e32 v66, 0xff800000                              // 0000000127C0: 7E8402FF FF800000
	s_mov_b32 s60, s90                                         // 0000000127C8: BEBC005A
	s_add_u32 s61, s89, 0xff                                   // 0000000127CC: 803DFF59 000000FF
	v_mov_b32_e32 v64, s61                                     // 0000000127D4: 7E80023D
	v_lshrrev_b32_e32 v240, 4, v0                              // 0000000127D8: 21E00084
	v_mul_i32_i24_e32 v240, 4, v240                            // 0000000127DC: 0DE1E084
	v_add_u32_e32 v240, s60, v240                              // 0000000127E0: 69E1E03C
	s_mov_b32 s61, 1                                           // 0000000127E4: BEBD0081
	s_mul_i32 s60, 16, s7                                      // 0000000127E8: 923C0790
	v_sub_u32_e64 v240, v240, s61                              // 0000000127EC: D13500F0 00007BF0
	v_add_u32_e32 v240, s60, v240                              // 0000000127F4: 69E1E03C
	v_add_u32_e32 v241, 1, v240                                // 0000000127F8: 69E3E081
	v_add_u32_e32 v242, 2, v240                                // 0000000127FC: 69E5E082
	v_add_u32_e32 v243, 3, v240                                // 000000012800: 69E7E083
	v_cmp_le_u32_e64 s[40:41], v240, v64                       // 000000012804: D0CB0028 000281F0
	v_add_u32_e32 v240, 64, v240                               // 00000001280C: 69E1E0C0
	s_nop 0                                                    // 000000012810: BF800000
	v_cndmask_b32_e64 v128, v66, v128, s[40:41]                // 000000012814: D1000080 00A30142
	v_cmp_le_u32_e64 s[40:41], v241, v64                       // 00000001281C: D0CB0028 000281F1
	v_add_u32_e32 v241, 64, v241                               // 000000012824: 69E3E2C0
	s_nop 0                                                    // 000000012828: BF800000
	v_cndmask_b32_e64 v129, v66, v129, s[40:41]                // 00000001282C: D1000081 00A30342
	v_cmp_le_u32_e64 s[40:41], v242, v64                       // 000000012834: D0CB0028 000281F2
	v_add_u32_e32 v242, 64, v242                               // 00000001283C: 69E5E4C0
	s_nop 0                                                    // 000000012840: BF800000
	v_cndmask_b32_e64 v130, v66, v130, s[40:41]                // 000000012844: D1000082 00A30542
	v_cmp_le_u32_e64 s[40:41], v243, v64                       // 00000001284C: D0CB0028 000281F3
	v_add_u32_e32 v243, 64, v243                               // 000000012854: 69E7E6C0
	s_nop 0                                                    // 000000012858: BF800000
	v_cndmask_b32_e64 v131, v66, v131, s[40:41]                // 00000001285C: D1000083 00A30742
	v_cmp_le_u32_e64 s[40:41], v240, v64                       // 000000012864: D0CB0028 000281F0
	v_add_u32_e32 v240, 64, v240                               // 00000001286C: 69E1E0C0
	s_nop 0                                                    // 000000012870: BF800000
	v_cndmask_b32_e64 v132, v66, v132, s[40:41]                // 000000012874: D1000084 00A30942
	v_cmp_le_u32_e64 s[40:41], v241, v64                       // 00000001287C: D0CB0028 000281F1
	v_add_u32_e32 v241, 64, v241                               // 000000012884: 69E3E2C0
	s_nop 0                                                    // 000000012888: BF800000
	v_cndmask_b32_e64 v133, v66, v133, s[40:41]                // 00000001288C: D1000085 00A30B42
	v_cmp_le_u32_e64 s[40:41], v242, v64                       // 000000012894: D0CB0028 000281F2
	v_add_u32_e32 v242, 64, v242                               // 00000001289C: 69E5E4C0
	s_nop 0                                                    // 0000000128A0: BF800000
	v_cndmask_b32_e64 v134, v66, v134, s[40:41]                // 0000000128A4: D1000086 00A30D42
	v_cmp_le_u32_e64 s[40:41], v243, v64                       // 0000000128AC: D0CB0028 000281F3
	v_add_u32_e32 v243, 64, v243                               // 0000000128B4: 69E7E6C0
	s_nop 0                                                    // 0000000128B8: BF800000
	v_cndmask_b32_e64 v135, v66, v135, s[40:41]                // 0000000128BC: D1000087 00A30F42
	v_cmp_le_u32_e64 s[40:41], v240, v64                       // 0000000128C4: D0CB0028 000281F0
	v_add_u32_e32 v240, 64, v240                               // 0000000128CC: 69E1E0C0
	s_nop 0                                                    // 0000000128D0: BF800000
	v_cndmask_b32_e64 v136, v66, v136, s[40:41]                // 0000000128D4: D1000088 00A31142
	v_cmp_le_u32_e64 s[40:41], v241, v64                       // 0000000128DC: D0CB0028 000281F1
	v_add_u32_e32 v241, 64, v241                               // 0000000128E4: 69E3E2C0
	s_nop 0                                                    // 0000000128E8: BF800000
	v_cndmask_b32_e64 v137, v66, v137, s[40:41]                // 0000000128EC: D1000089 00A31342
	v_cmp_le_u32_e64 s[40:41], v242, v64                       // 0000000128F4: D0CB0028 000281F2
	v_add_u32_e32 v242, 64, v242                               // 0000000128FC: 69E5E4C0
	s_nop 0                                                    // 000000012900: BF800000
	v_cndmask_b32_e64 v138, v66, v138, s[40:41]                // 000000012904: D100008A 00A31542
	v_cmp_le_u32_e64 s[40:41], v243, v64                       // 00000001290C: D0CB0028 000281F3
	v_add_u32_e32 v243, 64, v243                               // 000000012914: 69E7E6C0
	s_nop 0                                                    // 000000012918: BF800000
	v_cndmask_b32_e64 v139, v66, v139, s[40:41]                // 00000001291C: D100008B 00A31742
	v_cmp_le_u32_e64 s[40:41], v240, v64                       // 000000012924: D0CB0028 000281F0
	v_add_u32_e32 v240, 64, v240                               // 00000001292C: 69E1E0C0
	s_nop 0                                                    // 000000012930: BF800000
	v_cndmask_b32_e64 v140, v66, v140, s[40:41]                // 000000012934: D100008C 00A31942
	v_cmp_le_u32_e64 s[40:41], v241, v64                       // 00000001293C: D0CB0028 000281F1
	v_add_u32_e32 v241, 64, v241                               // 000000012944: 69E3E2C0
	s_nop 0                                                    // 000000012948: BF800000
	v_cndmask_b32_e64 v141, v66, v141, s[40:41]                // 00000001294C: D100008D 00A31B42
	v_cmp_le_u32_e64 s[40:41], v242, v64                       // 000000012954: D0CB0028 000281F2
	v_add_u32_e32 v242, 64, v242                               // 00000001295C: 69E5E4C0
	s_nop 0                                                    // 000000012960: BF800000
	v_cndmask_b32_e64 v142, v66, v142, s[40:41]                // 000000012964: D100008E 00A31D42
	v_cmp_le_u32_e64 s[40:41], v243, v64                       // 00000001296C: D0CB0028 000281F3
	v_add_u32_e32 v243, 64, v243                               // 000000012974: 69E7E6C0
	s_nop 0                                                    // 000000012978: BF800000
	v_cndmask_b32_e64 v143, v66, v143, s[40:41]                // 00000001297C: D100008F 00A31F42

0000000000012984 <label_41E1>:
	v_mov_b32_e32 v48, v128                                    // 000000012984: 7E600380
	v_max3_f32 v48, v128, v129, v48                            // 000000012988: D1D30030 04C30380
	v_max3_f32 v48, v130, v131, v48                            // 000000012990: D1D30030 04C30782
	v_max3_f32 v48, v132, v133, v48                            // 000000012998: D1D30030 04C30B84
	v_max3_f32 v48, v134, v135, v48                            // 0000000129A0: D1D30030 04C30F86
	v_max3_f32 v48, v136, v137, v48                            // 0000000129A8: D1D30030 04C31388
	v_max3_f32 v48, v138, v139, v48                            // 0000000129B0: D1D30030 04C3178A
	v_max3_f32 v48, v140, v141, v48                            // 0000000129B8: D1D30030 04C31B8C
	v_max3_f32 v48, v142, v143, v48                            // 0000000129C0: D1D30030 04C31F8E
	ds_write_b32 v8, v48 offset:16896                          // 0000000129C8: D81A4200 00003008
	v_mul_f32_e32 v216, v50, v216                              // 0000000129D0: 0BB1B132
	v_mul_f32_e32 v217, v50, v217                              // 0000000129D4: 0BB3B332
	v_mul_f32_e32 v218, v50, v218                              // 0000000129D8: 0BB5B532
	v_mul_f32_e32 v219, v50, v219                              // 0000000129DC: 0BB7B732
	v_mul_f32_e32 v220, v50, v220                              // 0000000129E0: 0BB9B932
	v_mul_f32_e32 v221, v50, v221                              // 0000000129E4: 0BBBBB32
	v_mul_f32_e32 v222, v50, v222                              // 0000000129E8: 0BBDBD32
	v_mul_f32_e32 v223, v50, v223                              // 0000000129EC: 0BBFBF32
	s_waitcnt lgkmcnt(0)                                       // 0000000129F0: BF8CC07F
	s_barrier                                                  // 0000000129F4: BF8A0000
	ds_read_b32 v64, v7 offset:16896                           // 0000000129F8: D86C4200 40000007
	ds_read_b32 v65, v7 offset:16960                           // 000000012A00: D86C4240 41000007
	ds_read_b32 v66, v7 offset:17024                           // 000000012A08: D86C4280 42000007
	ds_read_b32 v67, v7 offset:17088                           // 000000012A10: D86C42C0 43000007
	ds_read_b32 v68, v7 offset:17152                           // 000000012A18: D86C4300 44000007
	ds_read_b32 v69, v7 offset:17216                           // 000000012A20: D86C4340 45000007
	ds_read_b32 v70, v7 offset:17280                           // 000000012A28: D86C4380 46000007
	ds_read_b32 v71, v7 offset:17344                           // 000000012A30: D86C43C0 47000007
	ds_read_b32 v72, v7 offset:17408                           // 000000012A38: D86C4400 48000007
	ds_read_b32 v73, v7 offset:17472                           // 000000012A40: D86C4440 49000007
	ds_read_b32 v74, v7 offset:17536                           // 000000012A48: D86C4480 4A000007
	ds_read_b32 v75, v7 offset:17600                           // 000000012A50: D86C44C0 4B000007
	ds_read_b32 v76, v7 offset:17664                           // 000000012A58: D86C4500 4C000007
	ds_read_b32 v77, v7 offset:17728                           // 000000012A60: D86C4540 4D000007
	ds_read_b32 v78, v7 offset:17792                           // 000000012A68: D86C4580 4E000007
	ds_read_b32 v79, v7 offset:17856                           // 000000012A70: D86C45C0 4F000007
	v_cvt_f32_i32_e32 v184, v184                               // 000000012A78: 7F700BB8
	v_cvt_f32_i32_e32 v185, v185                               // 000000012A7C: 7F720BB9
	v_cvt_f32_i32_e32 v186, v186                               // 000000012A80: 7F740BBA
	v_cvt_f32_i32_e32 v187, v187                               // 000000012A84: 7F760BBB
	v_cvt_f32_i32_e32 v188, v188                               // 000000012A88: 7F780BBC
	v_cvt_f32_i32_e32 v189, v189                               // 000000012A8C: 7F7A0BBD
	v_cvt_f32_i32_e32 v190, v190                               // 000000012A90: 7F7C0BBE
	v_cvt_f32_i32_e32 v191, v191                               // 000000012A94: 7F7E0BBF
	v_mul_f32_e32 v184, v45, v184                              // 000000012A98: 0B71712D
	v_mul_f32_e32 v185, v45, v185                              // 000000012A9C: 0B73732D
	v_mul_f32_e32 v186, v45, v186                              // 000000012AA0: 0B75752D
	v_mul_f32_e32 v187, v45, v187                              // 000000012AA4: 0B77772D
	v_mul_f32_e32 v188, v45, v188                              // 000000012AA8: 0B79792D
	v_mul_f32_e32 v189, v45, v189                              // 000000012AAC: 0B7B7B2D
	v_mul_f32_e32 v190, v45, v190                              // 000000012AB0: 0B7D7D2D
	v_mul_f32_e32 v191, v45, v191                              // 000000012AB4: 0B7F7F2D
	s_waitcnt lgkmcnt(0)                                       // 000000012AB8: BF8CC07F
	v_max3_f32 v48, v64, v65, v48                              // 000000012ABC: D1D30030 04C28340
	v_max3_f32 v48, v66, v67, v48                              // 000000012AC4: D1D30030 04C28742
	v_max3_f32 v48, v68, v69, v48                              // 000000012ACC: D1D30030 04C28B44
	v_max3_f32 v48, v70, v71, v48                              // 000000012AD4: D1D30030 04C28F46
	v_max3_f32 v48, v72, v73, v48                              // 000000012ADC: D1D30030 04C29348
	v_max3_f32 v48, v74, v75, v48                              // 000000012AE4: D1D30030 04C2974A
	v_max3_f32 v48, v76, v77, v48                              // 000000012AEC: D1D30030 04C29B4C
	v_max3_f32 v48, v78, v79, v48                              // 000000012AF4: D1D30030 04C29F4E
	v_mov_b32_e32 v64, 0xff800000                              // 000000012AFC: 7E8002FF FF800000
	v_cmp_eq_u32_e64 s[40:41], v64, v12                        // 000000012B04: D0CA0028 00021940
	s_nop 1                                                    // 000000012B0C: BF800001
	v_max_f32_e32 v15, v48, v12                                // 000000012B10: 161E1930
	v_mul_f32_e32 v53, s64, v15                                // 000000012B14: 0A6A1E40
	v_fma_f32 v128, v128, s64, -v53                            // 000000012B18: D1CB0080 84D48180
	v_fma_f32 v129, v129, s64, -v53                            // 000000012B20: D1CB0081 84D48181
	v_fma_f32 v130, v130, s64, -v53                            // 000000012B28: D1CB0082 84D48182
	v_fma_f32 v131, v131, s64, -v53                            // 000000012B30: D1CB0083 84D48183
	v_fma_f32 v132, v132, s64, -v53                            // 000000012B38: D1CB0084 84D48184
	v_fma_f32 v133, v133, s64, -v53                            // 000000012B40: D1CB0085 84D48185
	v_fma_f32 v134, v134, s64, -v53                            // 000000012B48: D1CB0086 84D48186
	v_fma_f32 v135, v135, s64, -v53                            // 000000012B50: D1CB0087 84D48187
	v_fma_f32 v136, v136, s64, -v53                            // 000000012B58: D1CB0088 84D48188
	v_fma_f32 v137, v137, s64, -v53                            // 000000012B60: D1CB0089 84D48189
	v_fma_f32 v138, v138, s64, -v53                            // 000000012B68: D1CB008A 84D4818A
	v_fma_f32 v139, v139, s64, -v53                            // 000000012B70: D1CB008B 84D4818B
	v_fma_f32 v140, v140, s64, -v53                            // 000000012B78: D1CB008C 84D4818C
	v_fma_f32 v141, v141, s64, -v53                            // 000000012B80: D1CB008D 84D4818D
	v_fma_f32 v142, v142, s64, -v53                            // 000000012B88: D1CB008E 84D4818E
	v_fma_f32 v143, v143, s64, -v53                            // 000000012B90: D1CB008F 84D4818F
	v_exp_f32_e32 v128, v128                                   // 000000012B98: 7F004180
	v_exp_f32_e32 v129, v129                                   // 000000012B9C: 7F024181
	v_exp_f32_e32 v130, v130                                   // 000000012BA0: 7F044182
	v_exp_f32_e32 v131, v131                                   // 000000012BA4: 7F064183
	v_exp_f32_e32 v132, v132                                   // 000000012BA8: 7F084184
	v_exp_f32_e32 v133, v133                                   // 000000012BAC: 7F0A4185
	v_exp_f32_e32 v134, v134                                   // 000000012BB0: 7F0C4186
	v_exp_f32_e32 v135, v135                                   // 000000012BB4: 7F0E4187
	v_exp_f32_e32 v136, v136                                   // 000000012BB8: 7F104188
	v_exp_f32_e32 v137, v137                                   // 000000012BBC: 7F124189
	v_exp_f32_e32 v138, v138                                   // 000000012BC0: 7F14418A
	v_exp_f32_e32 v139, v139                                   // 000000012BC4: 7F16418B
	v_exp_f32_e32 v140, v140                                   // 000000012BC8: 7F18418C
	v_exp_f32_e32 v141, v141                                   // 000000012BCC: 7F1A418D
	v_exp_f32_e32 v142, v142                                   // 000000012BD0: 7F1C418E
	v_exp_f32_e32 v143, v143                                   // 000000012BD4: 7F1E418F
	v_mul_f32_dpp v240, v252, v128 quad_perm:[0,0,0,0] row_mask:0xf bank_mask:0xf// 000000012BD8: 0BE100FA FF0000FC
	v_mul_f32_dpp v241, v252, v129 quad_perm:[1,1,1,1] row_mask:0xf bank_mask:0xf// 000000012BE0: 0BE302FA FF0055FC
	v_mul_f32_dpp v242, v252, v130 quad_perm:[2,2,2,2] row_mask:0xf bank_mask:0xf// 000000012BE8: 0BE504FA FF00AAFC
	v_mul_f32_dpp v243, v252, v131 quad_perm:[3,3,3,3] row_mask:0xf bank_mask:0xf// 000000012BF0: 0BE706FA FF00FFFC
	v_mul_f32_dpp v244, v253, v132 quad_perm:[0,0,0,0] row_mask:0xf bank_mask:0xf// 000000012BF8: 0BE908FA FF0000FD
	v_mul_f32_dpp v245, v253, v133 quad_perm:[1,1,1,1] row_mask:0xf bank_mask:0xf// 000000012C00: 0BEB0AFA FF0055FD
	v_mul_f32_dpp v246, v253, v134 quad_perm:[2,2,2,2] row_mask:0xf bank_mask:0xf// 000000012C08: 0BED0CFA FF00AAFD
	v_mul_f32_dpp v247, v253, v135 quad_perm:[3,3,3,3] row_mask:0xf bank_mask:0xf// 000000012C10: 0BEF0EFA FF00FFFD
	v_mul_f32_dpp v248, v254, v136 quad_perm:[0,0,0,0] row_mask:0xf bank_mask:0xf// 000000012C18: 0BF110FA FF0000FE
	v_mul_f32_dpp v249, v254, v137 quad_perm:[1,1,1,1] row_mask:0xf bank_mask:0xf// 000000012C20: 0BF312FA FF0055FE
	v_mul_f32_dpp v250, v254, v138 quad_perm:[2,2,2,2] row_mask:0xf bank_mask:0xf// 000000012C28: 0BF514FA FF00AAFE
	v_mul_f32_dpp v251, v254, v139 quad_perm:[3,3,3,3] row_mask:0xf bank_mask:0xf// 000000012C30: 0BF716FA FF00FFFE
	v_mul_f32_dpp v252, v255, v140 quad_perm:[0,0,0,0] row_mask:0xf bank_mask:0xf// 000000012C38: 0BF918FA FF0000FF
	v_mul_f32_dpp v253, v255, v141 quad_perm:[1,1,1,1] row_mask:0xf bank_mask:0xf// 000000012C40: 0BFB1AFA FF0055FF
	v_mul_f32_dpp v254, v255, v142 quad_perm:[2,2,2,2] row_mask:0xf bank_mask:0xf// 000000012C48: 0BFD1CFA FF00AAFF
	v_mul_f32_dpp v255, v255, v143 quad_perm:[3,3,3,3] row_mask:0xf bank_mask:0xf// 000000012C50: 0BFF1EFA FF00FFFF
	v_mov_b32_e32 v48, 0x358637bd                              // 000000012C58: 7E6002FF 358637BD
	v_max3_f32 v48, |v240|, |v241|, v48                        // 000000012C60: D1D30330 04C3E3F0
	v_max3_f32 v48, |v242|, |v243|, v48                        // 000000012C68: D1D30330 04C3E7F2
	v_max3_f32 v48, |v244|, |v245|, v48                        // 000000012C70: D1D30330 04C3EBF4
	v_max3_f32 v48, |v246|, |v247|, v48                        // 000000012C78: D1D30330 04C3EFF6
	v_max3_f32 v48, |v248|, |v249|, v48                        // 000000012C80: D1D30330 04C3F3F8
	v_max3_f32 v48, |v250|, |v251|, v48                        // 000000012C88: D1D30330 04C3F7FA
	v_max3_f32 v48, |v252|, |v253|, v48                        // 000000012C90: D1D30330 04C3FBFC
	v_max3_f32 v48, |v254|, |v255|, v48                        // 000000012C98: D1D30330 04C3FFFE
	ds_write_b32 v8, v48 offset:20992                          // 000000012CA0: D81A5200 00003008
	v_sub_f32_e32 v50, v12, v15                                // 000000012CA8: 04641F0C
	v_cndmask_b32_e64 v50, v50, 0, s[40:41]                    // 000000012CAC: D1000032 00A10132
	v_mov_b32_e32 v12, v15                                     // 000000012CB4: 7E18030F
	v_mul_f32_e32 v50, s64, v50                                // 000000012CB8: 0A646440
	v_exp_f32_e32 v50, v50                                     // 000000012CBC: 7E644132
	s_waitcnt lgkmcnt(0)                                       // 000000012CC0: BF8CC07F
	s_barrier                                                  // 000000012CC4: BF8A0000
	ds_read_b32 v64, v7 offset:20992                           // 000000012CC8: D86C5200 40000007
	ds_read_b32 v65, v7 offset:21056                           // 000000012CD0: D86C5240 41000007
	ds_read_b32 v66, v7 offset:21120                           // 000000012CD8: D86C5280 42000007
	ds_read_b32 v67, v7 offset:21184                           // 000000012CE0: D86C52C0 43000007
	ds_read_b32 v68, v7 offset:21248                           // 000000012CE8: D86C5300 44000007
	ds_read_b32 v69, v7 offset:21312                           // 000000012CF0: D86C5340 45000007
	ds_read_b32 v70, v7 offset:21376                           // 000000012CF8: D86C5380 46000007
	ds_read_b32 v71, v7 offset:21440                           // 000000012D00: D86C53C0 47000007
	ds_read_b32 v72, v7 offset:21504                           // 000000012D08: D86C5400 48000007
	ds_read_b32 v73, v7 offset:21568                           // 000000012D10: D86C5440 49000007
	ds_read_b32 v74, v7 offset:21632                           // 000000012D18: D86C5480 4A000007
	ds_read_b32 v75, v7 offset:21696                           // 000000012D20: D86C54C0 4B000007
	ds_read_b32 v76, v7 offset:21760                           // 000000012D28: D86C5500 4C000007
	ds_read_b32 v77, v7 offset:21824                           // 000000012D30: D86C5540 4D000007
	ds_read_b32 v78, v7 offset:21888                           // 000000012D38: D86C5580 4E000007
	ds_read_b32 v79, v7 offset:21952                           // 000000012D40: D86C55C0 4F000007
	v_mul_f32_e32 v39, v50, v39                                // 000000012D48: 0A4E4F32
	v_mov_b32_e32 v15, v128                                    // 000000012D4C: 7E1E0380
	v_add_f32_e32 v15, v129, v15                               // 000000012D50: 021E1F81
	v_add_f32_e32 v15, v130, v15                               // 000000012D54: 021E1F82
	v_add_f32_e32 v15, v131, v15                               // 000000012D58: 021E1F83
	v_add_f32_e32 v15, v132, v15                               // 000000012D5C: 021E1F84
	v_add_f32_e32 v15, v133, v15                               // 000000012D60: 021E1F85
	v_add_f32_e32 v15, v134, v15                               // 000000012D64: 021E1F86
	v_add_f32_e32 v15, v135, v15                               // 000000012D68: 021E1F87
	v_add_f32_e32 v15, v136, v15                               // 000000012D6C: 021E1F88
	v_add_f32_e32 v15, v137, v15                               // 000000012D70: 021E1F89
	v_add_f32_e32 v15, v138, v15                               // 000000012D74: 021E1F8A
	v_add_f32_e32 v15, v139, v15                               // 000000012D78: 021E1F8B
	v_add_f32_e32 v15, v140, v15                               // 000000012D7C: 021E1F8C
	v_add_f32_e32 v15, v141, v15                               // 000000012D80: 021E1F8D
	v_add_f32_e32 v15, v142, v15                               // 000000012D84: 021E1F8E
	v_add_f32_e32 v15, v143, v15                               // 000000012D88: 021E1F8F
	v_add_f32_e32 v39, v15, v39                                // 000000012D8C: 024E4F0F
	s_waitcnt lgkmcnt(0)                                       // 000000012D90: BF8CC07F
	v_max3_f32 v48, |v64|, |v65|, v48                          // 000000012D94: D1D30330 04C28340
	v_max3_f32 v48, |v66|, |v67|, v48                          // 000000012D9C: D1D30330 04C28742
	v_max3_f32 v48, |v68|, |v69|, v48                          // 000000012DA4: D1D30330 04C28B44
	v_max3_f32 v48, |v70|, |v71|, v48                          // 000000012DAC: D1D30330 04C28F46
	v_max3_f32 v48, |v72|, |v73|, v48                          // 000000012DB4: D1D30330 04C29348
	v_max3_f32 v48, |v74|, |v75|, v48                          // 000000012DBC: D1D30330 04C2974A
	v_max3_f32 v48, |v76|, |v77|, v48                          // 000000012DC4: D1D30330 04C29B4C
	v_max3_f32 v48, |v78|, |v79|, v48                          // 000000012DCC: D1D30330 04C29F4E
	s_nop 2                                                    // 000000012DD4: BF800002
	v_rcp_f32_e32 v48, v48                                     // 000000012DD8: 7E604530
	s_nop 1                                                    // 000000012DDC: BF800001
	v_mul_f32_e32 v48, 0x42fe0000, v48                         // 000000012DE0: 0A6060FF 42FE0000
	v_mul_f32_e32 v128, v48, v240                              // 000000012DE8: 0B01E130
	v_mul_f32_e32 v129, v48, v241                              // 000000012DEC: 0B03E330
	v_mul_f32_e32 v130, v48, v242                              // 000000012DF0: 0B05E530
	v_mul_f32_e32 v131, v48, v243                              // 000000012DF4: 0B07E730
	v_mul_f32_e32 v132, v48, v244                              // 000000012DF8: 0B09E930
	v_mul_f32_e32 v133, v48, v245                              // 000000012DFC: 0B0BEB30
	v_mul_f32_e32 v134, v48, v246                              // 000000012E00: 0B0DED30
	v_mul_f32_e32 v135, v48, v247                              // 000000012E04: 0B0FEF30
	v_mul_f32_e32 v136, v48, v248                              // 000000012E08: 0B11F130
	v_mul_f32_e32 v137, v48, v249                              // 000000012E0C: 0B13F330
	v_mul_f32_e32 v138, v48, v250                              // 000000012E10: 0B15F530
	v_mul_f32_e32 v139, v48, v251                              // 000000012E14: 0B17F730
	v_mul_f32_e32 v140, v48, v252                              // 000000012E18: 0B19F930
	v_mul_f32_e32 v141, v48, v253                              // 000000012E1C: 0B1BFB30
	v_mul_f32_e32 v142, v48, v254                              // 000000012E20: 0B1DFD30
	v_mul_f32_e32 v143, v48, v255                              // 000000012E24: 0B1FFF30
	v_cvt_i32_f32_e32 v128, v128                               // 000000012E28: 7F001180
	v_cvt_i32_f32_e32 v129, v129                               // 000000012E2C: 7F021181
	v_cvt_i32_f32_e32 v130, v130                               // 000000012E30: 7F041182
	v_cvt_i32_f32_e32 v131, v131                               // 000000012E34: 7F061183
	v_cvt_i32_f32_e32 v132, v132                               // 000000012E38: 7F081184
	v_cvt_i32_f32_e32 v133, v133                               // 000000012E3C: 7F0A1185
	v_cvt_i32_f32_e32 v134, v134                               // 000000012E40: 7F0C1186
	v_cvt_i32_f32_e32 v135, v135                               // 000000012E44: 7F0E1187
	v_cvt_i32_f32_e32 v136, v136                               // 000000012E48: 7F101188
	v_cvt_i32_f32_e32 v137, v137                               // 000000012E4C: 7F121189
	v_cvt_i32_f32_e32 v138, v138                               // 000000012E50: 7F14118A
	v_cvt_i32_f32_e32 v139, v139                               // 000000012E54: 7F16118B
	v_cvt_i32_f32_e32 v140, v140                               // 000000012E58: 7F18118C
	v_cvt_i32_f32_e32 v141, v141                               // 000000012E5C: 7F1A118D
	v_cvt_i32_f32_e32 v142, v142                               // 000000012E60: 7F1C118E
	v_cvt_i32_f32_e32 v143, v143                               // 000000012E64: 7F1E118F
	v_perm_b32 v128, v129, v128, s53                           // 000000012E68: D1ED0080 00D70181
	v_perm_b32 v128, v130, v128, s54                           // 000000012E70: D1ED0080 00DB0182
	v_perm_b32 v128, v131, v128, s55                           // 000000012E78: D1ED0080 00DF0183
	v_perm_b32 v129, v133, v132, s53                           // 000000012E80: D1ED0081 00D70985
	v_perm_b32 v129, v134, v129, s54                           // 000000012E88: D1ED0081 00DB0386
	v_perm_b32 v129, v135, v129, s55                           // 000000012E90: D1ED0081 00DF0387
	v_perm_b32 v130, v137, v136, s53                           // 000000012E98: D1ED0082 00D71189
	v_perm_b32 v130, v138, v130, s54                           // 000000012EA0: D1ED0082 00DB058A
	v_perm_b32 v130, v139, v130, s55                           // 000000012EA8: D1ED0082 00DF058B
	v_perm_b32 v131, v141, v140, s53                           // 000000012EB0: D1ED0083 00D7198D
	v_perm_b32 v131, v142, v131, s54                           // 000000012EB8: D1ED0083 00DB078E
	v_perm_b32 v131, v143, v131, s55                           // 000000012EC0: D1ED0083 00DF078F
	ds_write_b32 v10, v128 offset:29184                        // 000000012EC8: D81A7200 0000800A
	ds_write_b32 v10, v129 offset:30208                        // 000000012ED0: D81A7600 0000810A
	ds_write_b32 v10, v130 offset:31232                        // 000000012ED8: D81A7A00 0000820A
	ds_write_b32 v10, v131 offset:32256                        // 000000012EE0: D81A7E00 0000830A
	v_add_f32_e32 v216, v216, v184                             // 000000012EE8: 03B171D8
	v_add_f32_e32 v217, v217, v185                             // 000000012EEC: 03B373D9
	v_add_f32_e32 v218, v218, v186                             // 000000012EF0: 03B575DA
	v_add_f32_e32 v219, v219, v187                             // 000000012EF4: 03B777DB
	v_add_f32_e32 v220, v220, v188                             // 000000012EF8: 03B979DC
	v_add_f32_e32 v221, v221, v189                             // 000000012EFC: 03BB7BDD
	v_add_f32_e32 v222, v222, v190                             // 000000012F00: 03BD7DDE
	v_add_f32_e32 v223, v223, v191                             // 000000012F04: 03BF7FDF
	v_rcp_f32_e32 v45, v48                                     // 000000012F08: 7E5A4530
	s_waitcnt lgkmcnt(0)                                       // 000000012F0C: BF8CC07F
	s_barrier                                                  // 000000012F10: BF8A0000
	ds_read_b64 v[128:129], v9 offset:29184                    // 000000012F14: D8EC7200 80000009
	ds_read_b64 v[130:131], v9 offset:29312                    // 000000012F1C: D8EC7280 82000009
	ds_read_b64 v[132:133], v9 offset:30208                    // 000000012F24: D8EC7600 84000009
	ds_read_b64 v[134:135], v9 offset:30336                    // 000000012F2C: D8EC7680 86000009
	ds_read_b64 v[136:137], v9 offset:31232                    // 000000012F34: D8EC7A00 88000009
	ds_read_b64 v[138:139], v9 offset:31360                    // 000000012F3C: D8EC7A80 8A000009
	ds_read_b64 v[140:141], v9 offset:32256                    // 000000012F44: D8EC7E00 8C000009
	ds_read_b64 v[142:143], v9 offset:32384                    // 000000012F4C: D8EC7E80 8E000009
	v_mov_b32_dpp v64, v42 row_shr:4 row_mask:0xf bank_mask:0xf// 000000012F54: 7E8002FA FF01142A
	v_mov_b32_dpp v65, v42 row_shl:4 row_mask:0xf bank_mask:0xf// 000000012F5C: 7E8202FA FF01042A
	v_cndmask_b32_e64 v248, v42, v64, s[44:45]                 // 000000012F64: D10000F8 00B2812A
	v_cndmask_b32_e64 v249, v65, v42, s[44:45]                 // 000000012F6C: D10000F9 00B25541
	v_mov_b32_dpp v64, v248 row_shr:8 row_mask:0xf bank_mask:0xf// 000000012F74: 7E8002FA FF0118F8
	v_mov_b32_dpp v65, v248 row_shl:8 row_mask:0xf bank_mask:0xf// 000000012F7C: 7E8202FA FF0108F8
	v_mov_b32_dpp v66, v249 row_shr:8 row_mask:0xf bank_mask:0xf// 000000012F84: 7E8402FA FF0118F9
	v_mov_b32_dpp v67, v249 row_shl:8 row_mask:0xf bank_mask:0xf// 000000012F8C: 7E8602FA FF0108F9
	v_mov_b32_e32 v68, v248                                    // 000000012F94: 7E8803F8
	v_mov_b32_e32 v69, v249                                    // 000000012F98: 7E8A03F9
	v_cndmask_b32_e64 v248, v68, v64, s[42:43]                 // 000000012F9C: D10000F8 00AA8144
	v_cndmask_b32_e64 v250, v68, v65, s[78:79]                 // 000000012FA4: D10000FA 013A8344
	v_cndmask_b32_e64 v249, v69, v66, s[42:43]                 // 000000012FAC: D10000F9 00AA8545
	v_cndmask_b32_e64 v251, v69, v67, s[78:79]                 // 000000012FB4: D10000FB 013A8745
	v_mov_b32_dpp v64, v57 row_shr:4 row_mask:0xf bank_mask:0xf// 000000012FBC: 7E8002FA FF011439
	v_mov_b32_dpp v65, v57 row_shl:4 row_mask:0xf bank_mask:0xf// 000000012FC4: 7E8202FA FF010439
	v_cndmask_b32_e64 v252, v57, v64, s[44:45]                 // 000000012FCC: D10000FC 00B28139
	v_cndmask_b32_e64 v253, v65, v57, s[44:45]                 // 000000012FD4: D10000FD 00B27341
	v_mov_b32_dpp v64, v252 row_shr:8 row_mask:0xf bank_mask:0xf// 000000012FDC: 7E8002FA FF0118FC
	v_mov_b32_dpp v65, v252 row_shl:8 row_mask:0xf bank_mask:0xf// 000000012FE4: 7E8202FA FF0108FC
	v_mov_b32_dpp v66, v253 row_shr:8 row_mask:0xf bank_mask:0xf// 000000012FEC: 7E8402FA FF0118FD
	v_mov_b32_dpp v67, v253 row_shl:8 row_mask:0xf bank_mask:0xf// 000000012FF4: 7E8602FA FF0108FD
	v_mov_b32_e32 v68, v252                                    // 000000012FFC: 7E8803FC
	v_mov_b32_e32 v69, v253                                    // 000000013000: 7E8A03FD
	v_cndmask_b32_e64 v252, v68, v64, s[42:43]                 // 000000013004: D10000FC 00AA8144
	v_cndmask_b32_e64 v254, v68, v65, s[78:79]                 // 00000001300C: D10000FE 013A8344
	v_cndmask_b32_e64 v253, v69, v66, s[42:43]                 // 000000013014: D10000FD 00AA8545
	v_cndmask_b32_e64 v255, v69, v67, s[78:79]                 // 00000001301C: D10000FF 013A8745
	v_cvt_f32_i32_e32 v144, v144                               // 000000013024: 7F200B90
	v_cvt_f32_i32_e32 v145, v145                               // 000000013028: 7F220B91
	v_cvt_f32_i32_e32 v146, v146                               // 00000001302C: 7F240B92
	v_cvt_f32_i32_e32 v147, v147                               // 000000013030: 7F260B93
	v_cvt_f32_i32_e32 v148, v148                               // 000000013034: 7F280B94
	v_cvt_f32_i32_e32 v149, v149                               // 000000013038: 7F2A0B95
	v_cvt_f32_i32_e32 v150, v150                               // 00000001303C: 7F2C0B96
	v_cvt_f32_i32_e32 v151, v151                               // 000000013040: 7F2E0B97
	v_cvt_f32_i32_e32 v152, v152                               // 000000013044: 7F300B98
	v_cvt_f32_i32_e32 v153, v153                               // 000000013048: 7F320B99
	v_cvt_f32_i32_e32 v154, v154                               // 00000001304C: 7F340B9A
	v_cvt_f32_i32_e32 v155, v155                               // 000000013050: 7F360B9B
	v_cvt_f32_i32_e32 v156, v156                               // 000000013054: 7F380B9C
	v_cvt_f32_i32_e32 v157, v157                               // 000000013058: 7F3A0B9D
	v_cvt_f32_i32_e32 v158, v158                               // 00000001305C: 7F3C0B9E
	v_cvt_f32_i32_e32 v159, v159                               // 000000013060: 7F3E0B9F
	v_mul_f32_e32 v144, v20, v144                              // 000000013064: 0B212114
	v_mul_f32_e32 v145, v20, v145                              // 000000013068: 0B232314
	v_mul_f32_e32 v146, v20, v146                              // 00000001306C: 0B252514
	v_mul_f32_e32 v147, v20, v147                              // 000000013070: 0B272714
	v_mul_f32_e32 v148, v20, v148                              // 000000013074: 0B292914
	v_mul_f32_e32 v149, v20, v149                              // 000000013078: 0B2B2B14
	v_mul_f32_e32 v150, v20, v150                              // 00000001307C: 0B2D2D14
	v_mul_f32_e32 v151, v20, v151                              // 000000013080: 0B2F2F14
	v_mul_f32_e32 v152, v20, v152                              // 000000013084: 0B313114
	v_mul_f32_e32 v153, v20, v153                              // 000000013088: 0B333314
	v_mul_f32_e32 v154, v20, v154                              // 00000001308C: 0B353514
	v_mul_f32_e32 v155, v20, v155                              // 000000013090: 0B373714
	v_mul_f32_e32 v156, v20, v156                              // 000000013094: 0B393914
	v_mul_f32_e32 v157, v20, v157                              // 000000013098: 0B3B3B14
	v_mul_f32_e32 v158, v20, v158                              // 00000001309C: 0B3D3D14
	v_mul_f32_e32 v159, v20, v159                              // 0000000130A0: 0B3F3F14
	v_mul_f32_dpp v144, v248, v144 quad_perm:[0,0,0,0] row_mask:0xf bank_mask:0xf// 0000000130A4: 0B2120FA FF0000F8
	v_mul_f32_dpp v145, v248, v145 quad_perm:[1,1,1,1] row_mask:0xf bank_mask:0xf// 0000000130AC: 0B2322FA FF0055F8
	v_mul_f32_dpp v146, v248, v146 quad_perm:[2,2,2,2] row_mask:0xf bank_mask:0xf// 0000000130B4: 0B2524FA FF00AAF8
	v_mul_f32_dpp v147, v248, v147 quad_perm:[3,3,3,3] row_mask:0xf bank_mask:0xf// 0000000130BC: 0B2726FA FF00FFF8
	v_mul_f32_dpp v148, v249, v148 quad_perm:[0,0,0,0] row_mask:0xf bank_mask:0xf// 0000000130C4: 0B2928FA FF0000F9
	v_mul_f32_dpp v149, v249, v149 quad_perm:[1,1,1,1] row_mask:0xf bank_mask:0xf// 0000000130CC: 0B2B2AFA FF0055F9
	v_mul_f32_dpp v150, v249, v150 quad_perm:[2,2,2,2] row_mask:0xf bank_mask:0xf// 0000000130D4: 0B2D2CFA FF00AAF9
	v_mul_f32_dpp v151, v249, v151 quad_perm:[3,3,3,3] row_mask:0xf bank_mask:0xf// 0000000130DC: 0B2F2EFA FF00FFF9
	v_mul_f32_dpp v152, v250, v152 quad_perm:[0,0,0,0] row_mask:0xf bank_mask:0xf// 0000000130E4: 0B3130FA FF0000FA
	v_mul_f32_dpp v153, v250, v153 quad_perm:[1,1,1,1] row_mask:0xf bank_mask:0xf// 0000000130EC: 0B3332FA FF0055FA
	v_mul_f32_dpp v154, v250, v154 quad_perm:[2,2,2,2] row_mask:0xf bank_mask:0xf// 0000000130F4: 0B3534FA FF00AAFA
	v_mul_f32_dpp v155, v250, v155 quad_perm:[3,3,3,3] row_mask:0xf bank_mask:0xf// 0000000130FC: 0B3736FA FF00FFFA
	v_mul_f32_dpp v156, v251, v156 quad_perm:[0,0,0,0] row_mask:0xf bank_mask:0xf// 000000013104: 0B3938FA FF0000FB
	v_mul_f32_dpp v157, v251, v157 quad_perm:[1,1,1,1] row_mask:0xf bank_mask:0xf// 00000001310C: 0B3B3AFA FF0055FB
	v_mul_f32_dpp v158, v251, v158 quad_perm:[2,2,2,2] row_mask:0xf bank_mask:0xf// 000000013114: 0B3D3CFA FF00AAFB
	v_mul_f32_dpp v159, v251, v159 quad_perm:[3,3,3,3] row_mask:0xf bank_mask:0xf// 00000001311C: 0B3F3EFA FF00FFFB
	s_cmp_le_i32 s90, s89                                      // 000000013124: BF05595A
	s_cbranch_scc1 label_443C                                  // 000000013128: BF850071
	v_mov_b32_e32 v66, 0xff800000                              // 00000001312C: 7E8402FF FF800000
	s_mov_b32 s60, s90                                         // 000000013134: BEBC005A
	s_add_u32 s61, s89, 0xff                                   // 000000013138: 803DFF59 000000FF
	v_mov_b32_e32 v64, s61                                     // 000000013140: 7E80023D
	v_lshrrev_b32_e32 v240, 4, v0                              // 000000013144: 21E00084
	v_mul_i32_i24_e32 v240, 4, v240                            // 000000013148: 0DE1E084
	v_add_u32_e32 v240, s60, v240                              // 00000001314C: 69E1E03C
	s_mov_b32 s61, 2                                           // 000000013150: BEBD0082
	s_mul_i32 s60, 16, s7                                      // 000000013154: 923C0790
	v_sub_u32_e64 v240, v240, s61                              // 000000013158: D13500F0 00007BF0
	v_add_u32_e32 v240, s60, v240                              // 000000013160: 69E1E03C
	v_add_u32_e32 v241, 1, v240                                // 000000013164: 69E3E081
	v_add_u32_e32 v242, 2, v240                                // 000000013168: 69E5E082
	v_add_u32_e32 v243, 3, v240                                // 00000001316C: 69E7E083
	v_cmp_le_u32_e64 s[40:41], v240, v64                       // 000000013170: D0CB0028 000281F0
	v_add_u32_e32 v240, 64, v240                               // 000000013178: 69E1E0C0
	s_nop 0                                                    // 00000001317C: BF800000
	v_cndmask_b32_e64 v144, v66, v144, s[40:41]                // 000000013180: D1000090 00A32142
	v_cmp_le_u32_e64 s[40:41], v241, v64                       // 000000013188: D0CB0028 000281F1
	v_add_u32_e32 v241, 64, v241                               // 000000013190: 69E3E2C0
	s_nop 0                                                    // 000000013194: BF800000
	v_cndmask_b32_e64 v145, v66, v145, s[40:41]                // 000000013198: D1000091 00A32342
	v_cmp_le_u32_e64 s[40:41], v242, v64                       // 0000000131A0: D0CB0028 000281F2
	v_add_u32_e32 v242, 64, v242                               // 0000000131A8: 69E5E4C0
	s_nop 0                                                    // 0000000131AC: BF800000
	v_cndmask_b32_e64 v146, v66, v146, s[40:41]                // 0000000131B0: D1000092 00A32542
	v_cmp_le_u32_e64 s[40:41], v243, v64                       // 0000000131B8: D0CB0028 000281F3
	v_add_u32_e32 v243, 64, v243                               // 0000000131C0: 69E7E6C0
	s_nop 0                                                    // 0000000131C4: BF800000
	v_cndmask_b32_e64 v147, v66, v147, s[40:41]                // 0000000131C8: D1000093 00A32742
	v_cmp_le_u32_e64 s[40:41], v240, v64                       // 0000000131D0: D0CB0028 000281F0
	v_add_u32_e32 v240, 64, v240                               // 0000000131D8: 69E1E0C0
	s_nop 0                                                    // 0000000131DC: BF800000
	v_cndmask_b32_e64 v148, v66, v148, s[40:41]                // 0000000131E0: D1000094 00A32942
	v_cmp_le_u32_e64 s[40:41], v241, v64                       // 0000000131E8: D0CB0028 000281F1
	v_add_u32_e32 v241, 64, v241                               // 0000000131F0: 69E3E2C0
	s_nop 0                                                    // 0000000131F4: BF800000
	v_cndmask_b32_e64 v149, v66, v149, s[40:41]                // 0000000131F8: D1000095 00A32B42
	v_cmp_le_u32_e64 s[40:41], v242, v64                       // 000000013200: D0CB0028 000281F2
	v_add_u32_e32 v242, 64, v242                               // 000000013208: 69E5E4C0
	s_nop 0                                                    // 00000001320C: BF800000
	v_cndmask_b32_e64 v150, v66, v150, s[40:41]                // 000000013210: D1000096 00A32D42
	v_cmp_le_u32_e64 s[40:41], v243, v64                       // 000000013218: D0CB0028 000281F3
	v_add_u32_e32 v243, 64, v243                               // 000000013220: 69E7E6C0
	s_nop 0                                                    // 000000013224: BF800000
	v_cndmask_b32_e64 v151, v66, v151, s[40:41]                // 000000013228: D1000097 00A32F42
	v_cmp_le_u32_e64 s[40:41], v240, v64                       // 000000013230: D0CB0028 000281F0
	v_add_u32_e32 v240, 64, v240                               // 000000013238: 69E1E0C0
	s_nop 0                                                    // 00000001323C: BF800000
	v_cndmask_b32_e64 v152, v66, v152, s[40:41]                // 000000013240: D1000098 00A33142
	v_cmp_le_u32_e64 s[40:41], v241, v64                       // 000000013248: D0CB0028 000281F1
	v_add_u32_e32 v241, 64, v241                               // 000000013250: 69E3E2C0
	s_nop 0                                                    // 000000013254: BF800000
	v_cndmask_b32_e64 v153, v66, v153, s[40:41]                // 000000013258: D1000099 00A33342
	v_cmp_le_u32_e64 s[40:41], v242, v64                       // 000000013260: D0CB0028 000281F2
	v_add_u32_e32 v242, 64, v242                               // 000000013268: 69E5E4C0
	s_nop 0                                                    // 00000001326C: BF800000
	v_cndmask_b32_e64 v154, v66, v154, s[40:41]                // 000000013270: D100009A 00A33542
	v_cmp_le_u32_e64 s[40:41], v243, v64                       // 000000013278: D0CB0028 000281F3
	v_add_u32_e32 v243, 64, v243                               // 000000013280: 69E7E6C0
	s_nop 0                                                    // 000000013284: BF800000
	v_cndmask_b32_e64 v155, v66, v155, s[40:41]                // 000000013288: D100009B 00A33742
	v_cmp_le_u32_e64 s[40:41], v240, v64                       // 000000013290: D0CB0028 000281F0
	v_add_u32_e32 v240, 64, v240                               // 000000013298: 69E1E0C0
	s_nop 0                                                    // 00000001329C: BF800000
	v_cndmask_b32_e64 v156, v66, v156, s[40:41]                // 0000000132A0: D100009C 00A33942
	v_cmp_le_u32_e64 s[40:41], v241, v64                       // 0000000132A8: D0CB0028 000281F1
	v_add_u32_e32 v241, 64, v241                               // 0000000132B0: 69E3E2C0
	s_nop 0                                                    // 0000000132B4: BF800000
	v_cndmask_b32_e64 v157, v66, v157, s[40:41]                // 0000000132B8: D100009D 00A33B42
	v_cmp_le_u32_e64 s[40:41], v242, v64                       // 0000000132C0: D0CB0028 000281F2
	v_add_u32_e32 v242, 64, v242                               // 0000000132C8: 69E5E4C0
	s_nop 0                                                    // 0000000132CC: BF800000
	v_cndmask_b32_e64 v158, v66, v158, s[40:41]                // 0000000132D0: D100009E 00A33D42
	v_cmp_le_u32_e64 s[40:41], v243, v64                       // 0000000132D8: D0CB0028 000281F3
	v_add_u32_e32 v243, 64, v243                               // 0000000132E0: 69E7E6C0
	s_nop 0                                                    // 0000000132E4: BF800000
	v_cndmask_b32_e64 v159, v66, v159, s[40:41]                // 0000000132E8: D100009F 00A33F42

00000000000132f0 <label_443C>:
	s_add_u32 s90, s91, s90                                    // 0000000132F0: 805A5A5B
	v_mov_b32_e32 v48, v144                                    // 0000000132F4: 7E600390
	v_max3_f32 v48, v144, v145, v48                            // 0000000132F8: D1D30030 04C32390
	v_max3_f32 v48, v146, v147, v48                            // 000000013300: D1D30030 04C32792
	v_max3_f32 v48, v148, v149, v48                            // 000000013308: D1D30030 04C32B94
	v_max3_f32 v48, v150, v151, v48                            // 000000013310: D1D30030 04C32F96
	v_max3_f32 v48, v152, v153, v48                            // 000000013318: D1D30030 04C33398
	v_max3_f32 v48, v154, v155, v48                            // 000000013320: D1D30030 04C3379A
	v_max3_f32 v48, v156, v157, v48                            // 000000013328: D1D30030 04C33B9C
	v_max3_f32 v48, v158, v159, v48                            // 000000013330: D1D30030 04C33F9E
	ds_write_b32 v8, v48 offset:16896                          // 000000013338: D81A4200 00003008
	v_mul_f32_e32 v224, v51, v224                              // 000000013340: 0BC1C133
	v_mul_f32_e32 v225, v51, v225                              // 000000013344: 0BC3C333
	v_mul_f32_e32 v226, v51, v226                              // 000000013348: 0BC5C533
	v_mul_f32_e32 v227, v51, v227                              // 00000001334C: 0BC7C733
	v_mul_f32_e32 v228, v51, v228                              // 000000013350: 0BC9C933
	v_mul_f32_e32 v229, v51, v229                              // 000000013354: 0BCBCB33
	v_mul_f32_e32 v230, v51, v230                              // 000000013358: 0BCDCD33
	v_mul_f32_e32 v231, v51, v231                              // 00000001335C: 0BCFCF33
	s_waitcnt lgkmcnt(0)                                       // 000000013360: BF8CC07F
	s_barrier                                                  // 000000013364: BF8A0000
	ds_read_b32 v64, v7 offset:16896                           // 000000013368: D86C4200 40000007
	ds_read_b32 v65, v7 offset:16960                           // 000000013370: D86C4240 41000007
	ds_read_b32 v66, v7 offset:17024                           // 000000013378: D86C4280 42000007
	ds_read_b32 v67, v7 offset:17088                           // 000000013380: D86C42C0 43000007
	ds_read_b32 v68, v7 offset:17152                           // 000000013388: D86C4300 44000007
	ds_read_b32 v69, v7 offset:17216                           // 000000013390: D86C4340 45000007
	ds_read_b32 v70, v7 offset:17280                           // 000000013398: D86C4380 46000007
	ds_read_b32 v71, v7 offset:17344                           // 0000000133A0: D86C43C0 47000007
	ds_read_b32 v72, v7 offset:17408                           // 0000000133A8: D86C4400 48000007
	ds_read_b32 v73, v7 offset:17472                           // 0000000133B0: D86C4440 49000007
	ds_read_b32 v74, v7 offset:17536                           // 0000000133B8: D86C4480 4A000007
	ds_read_b32 v75, v7 offset:17600                           // 0000000133C0: D86C44C0 4B000007
	ds_read_b32 v76, v7 offset:17664                           // 0000000133C8: D86C4500 4C000007
	ds_read_b32 v77, v7 offset:17728                           // 0000000133D0: D86C4540 4D000007
	ds_read_b32 v78, v7 offset:17792                           // 0000000133D8: D86C4580 4E000007
	ds_read_b32 v79, v7 offset:17856                           // 0000000133E0: D86C45C0 4F000007
	v_cvt_f32_i32_e32 v192, v192                               // 0000000133E8: 7F800BC0
	v_cvt_f32_i32_e32 v193, v193                               // 0000000133EC: 7F820BC1
	v_cvt_f32_i32_e32 v194, v194                               // 0000000133F0: 7F840BC2
	v_cvt_f32_i32_e32 v195, v195                               // 0000000133F4: 7F860BC3
	v_cvt_f32_i32_e32 v196, v196                               // 0000000133F8: 7F880BC4
	v_cvt_f32_i32_e32 v197, v197                               // 0000000133FC: 7F8A0BC5
	v_cvt_f32_i32_e32 v198, v198                               // 000000013400: 7F8C0BC6
	v_cvt_f32_i32_e32 v199, v199                               // 000000013404: 7F8E0BC7
	v_mul_f32_e32 v192, v46, v192                              // 000000013408: 0B81812E
	v_mul_f32_e32 v193, v46, v193                              // 00000001340C: 0B83832E
	v_mul_f32_e32 v194, v46, v194                              // 000000013410: 0B85852E
	v_mul_f32_e32 v195, v46, v195                              // 000000013414: 0B87872E
	v_mul_f32_e32 v196, v46, v196                              // 000000013418: 0B89892E
	v_mul_f32_e32 v197, v46, v197                              // 00000001341C: 0B8B8B2E
	v_mul_f32_e32 v198, v46, v198                              // 000000013420: 0B8D8D2E
	v_mul_f32_e32 v199, v46, v199                              // 000000013424: 0B8F8F2E
	s_waitcnt lgkmcnt(0)                                       // 000000013428: BF8CC07F
	v_max3_f32 v48, v64, v65, v48                              // 00000001342C: D1D30030 04C28340
	v_max3_f32 v48, v66, v67, v48                              // 000000013434: D1D30030 04C28742
	v_max3_f32 v48, v68, v69, v48                              // 00000001343C: D1D30030 04C28B44
	v_max3_f32 v48, v70, v71, v48                              // 000000013444: D1D30030 04C28F46
	v_max3_f32 v48, v72, v73, v48                              // 00000001344C: D1D30030 04C29348
	v_max3_f32 v48, v74, v75, v48                              // 000000013454: D1D30030 04C2974A
	v_max3_f32 v48, v76, v77, v48                              // 00000001345C: D1D30030 04C29B4C
	v_max3_f32 v48, v78, v79, v48                              // 000000013464: D1D30030 04C29F4E
	v_mov_b32_e32 v64, 0xff800000                              // 00000001346C: 7E8002FF FF800000
	v_cmp_eq_u32_e64 s[40:41], v64, v13                        // 000000013474: D0CA0028 00021B40
	s_nop 1                                                    // 00000001347C: BF800001
	v_max_f32_e32 v15, v48, v13                                // 000000013480: 161E1B30
	v_mul_f32_e32 v53, s64, v15                                // 000000013484: 0A6A1E40
	v_fma_f32 v144, v144, s64, -v53                            // 000000013488: D1CB0090 84D48190
	v_fma_f32 v145, v145, s64, -v53                            // 000000013490: D1CB0091 84D48191
	v_fma_f32 v146, v146, s64, -v53                            // 000000013498: D1CB0092 84D48192
	v_fma_f32 v147, v147, s64, -v53                            // 0000000134A0: D1CB0093 84D48193
	v_fma_f32 v148, v148, s64, -v53                            // 0000000134A8: D1CB0094 84D48194
	v_fma_f32 v149, v149, s64, -v53                            // 0000000134B0: D1CB0095 84D48195
	v_fma_f32 v150, v150, s64, -v53                            // 0000000134B8: D1CB0096 84D48196
	v_fma_f32 v151, v151, s64, -v53                            // 0000000134C0: D1CB0097 84D48197
	v_fma_f32 v152, v152, s64, -v53                            // 0000000134C8: D1CB0098 84D48198
	v_fma_f32 v153, v153, s64, -v53                            // 0000000134D0: D1CB0099 84D48199
	v_fma_f32 v154, v154, s64, -v53                            // 0000000134D8: D1CB009A 84D4819A
	v_fma_f32 v155, v155, s64, -v53                            // 0000000134E0: D1CB009B 84D4819B
	v_fma_f32 v156, v156, s64, -v53                            // 0000000134E8: D1CB009C 84D4819C
	v_fma_f32 v157, v157, s64, -v53                            // 0000000134F0: D1CB009D 84D4819D
	v_fma_f32 v158, v158, s64, -v53                            // 0000000134F8: D1CB009E 84D4819E
	v_fma_f32 v159, v159, s64, -v53                            // 000000013500: D1CB009F 84D4819F
	v_exp_f32_e32 v144, v144                                   // 000000013508: 7F204190
	v_exp_f32_e32 v145, v145                                   // 00000001350C: 7F224191
	v_exp_f32_e32 v146, v146                                   // 000000013510: 7F244192
	v_exp_f32_e32 v147, v147                                   // 000000013514: 7F264193
	v_exp_f32_e32 v148, v148                                   // 000000013518: 7F284194
	v_exp_f32_e32 v149, v149                                   // 00000001351C: 7F2A4195
	v_exp_f32_e32 v150, v150                                   // 000000013520: 7F2C4196
	v_exp_f32_e32 v151, v151                                   // 000000013524: 7F2E4197
	v_exp_f32_e32 v152, v152                                   // 000000013528: 7F304198
	v_exp_f32_e32 v153, v153                                   // 00000001352C: 7F324199
	v_exp_f32_e32 v154, v154                                   // 000000013530: 7F34419A
	v_exp_f32_e32 v155, v155                                   // 000000013534: 7F36419B
	v_exp_f32_e32 v156, v156                                   // 000000013538: 7F38419C
	v_exp_f32_e32 v157, v157                                   // 00000001353C: 7F3A419D
	v_exp_f32_e32 v158, v158                                   // 000000013540: 7F3C419E
	v_exp_f32_e32 v159, v159                                   // 000000013544: 7F3E419F
	v_mul_f32_dpp v240, v252, v144 quad_perm:[0,0,0,0] row_mask:0xf bank_mask:0xf// 000000013548: 0BE120FA FF0000FC
	v_mul_f32_dpp v241, v252, v145 quad_perm:[1,1,1,1] row_mask:0xf bank_mask:0xf// 000000013550: 0BE322FA FF0055FC
	v_mul_f32_dpp v242, v252, v146 quad_perm:[2,2,2,2] row_mask:0xf bank_mask:0xf// 000000013558: 0BE524FA FF00AAFC
	v_mul_f32_dpp v243, v252, v147 quad_perm:[3,3,3,3] row_mask:0xf bank_mask:0xf// 000000013560: 0BE726FA FF00FFFC
	v_mul_f32_dpp v244, v253, v148 quad_perm:[0,0,0,0] row_mask:0xf bank_mask:0xf// 000000013568: 0BE928FA FF0000FD
	v_mul_f32_dpp v245, v253, v149 quad_perm:[1,1,1,1] row_mask:0xf bank_mask:0xf// 000000013570: 0BEB2AFA FF0055FD
	v_mul_f32_dpp v246, v253, v150 quad_perm:[2,2,2,2] row_mask:0xf bank_mask:0xf// 000000013578: 0BED2CFA FF00AAFD
	v_mul_f32_dpp v247, v253, v151 quad_perm:[3,3,3,3] row_mask:0xf bank_mask:0xf// 000000013580: 0BEF2EFA FF00FFFD
	v_mul_f32_dpp v248, v254, v152 quad_perm:[0,0,0,0] row_mask:0xf bank_mask:0xf// 000000013588: 0BF130FA FF0000FE
	v_mul_f32_dpp v249, v254, v153 quad_perm:[1,1,1,1] row_mask:0xf bank_mask:0xf// 000000013590: 0BF332FA FF0055FE
	v_mul_f32_dpp v250, v254, v154 quad_perm:[2,2,2,2] row_mask:0xf bank_mask:0xf// 000000013598: 0BF534FA FF00AAFE
	v_mul_f32_dpp v251, v254, v155 quad_perm:[3,3,3,3] row_mask:0xf bank_mask:0xf// 0000000135A0: 0BF736FA FF00FFFE
	v_mul_f32_dpp v252, v255, v156 quad_perm:[0,0,0,0] row_mask:0xf bank_mask:0xf// 0000000135A8: 0BF938FA FF0000FF
	v_mul_f32_dpp v253, v255, v157 quad_perm:[1,1,1,1] row_mask:0xf bank_mask:0xf// 0000000135B0: 0BFB3AFA FF0055FF
	v_mul_f32_dpp v254, v255, v158 quad_perm:[2,2,2,2] row_mask:0xf bank_mask:0xf// 0000000135B8: 0BFD3CFA FF00AAFF
	v_mul_f32_dpp v255, v255, v159 quad_perm:[3,3,3,3] row_mask:0xf bank_mask:0xf// 0000000135C0: 0BFF3EFA FF00FFFF
	v_mov_b32_e32 v48, 0x358637bd                              // 0000000135C8: 7E6002FF 358637BD
	v_max3_f32 v48, |v240|, |v241|, v48                        // 0000000135D0: D1D30330 04C3E3F0
	v_max3_f32 v48, |v242|, |v243|, v48                        // 0000000135D8: D1D30330 04C3E7F2
	v_max3_f32 v48, |v244|, |v245|, v48                        // 0000000135E0: D1D30330 04C3EBF4
	v_max3_f32 v48, |v246|, |v247|, v48                        // 0000000135E8: D1D30330 04C3EFF6
	v_max3_f32 v48, |v248|, |v249|, v48                        // 0000000135F0: D1D30330 04C3F3F8
	v_max3_f32 v48, |v250|, |v251|, v48                        // 0000000135F8: D1D30330 04C3F7FA
	v_max3_f32 v48, |v252|, |v253|, v48                        // 000000013600: D1D30330 04C3FBFC
	v_max3_f32 v48, |v254|, |v255|, v48                        // 000000013608: D1D30330 04C3FFFE
	ds_write_b32 v8, v48 offset:20992                          // 000000013610: D81A5200 00003008
	v_sub_f32_e32 v51, v13, v15                                // 000000013618: 04661F0D
	v_cndmask_b32_e64 v51, v51, 0, s[40:41]                    // 00000001361C: D1000033 00A10133
	v_mov_b32_e32 v13, v15                                     // 000000013624: 7E1A030F
	v_mul_f32_e32 v51, s64, v51                                // 000000013628: 0A666640
	v_exp_f32_e32 v51, v51                                     // 00000001362C: 7E664133
	s_waitcnt lgkmcnt(0)                                       // 000000013630: BF8CC07F
	s_barrier                                                  // 000000013634: BF8A0000
	ds_read_b32 v64, v7 offset:20992                           // 000000013638: D86C5200 40000007
	ds_read_b32 v65, v7 offset:21056                           // 000000013640: D86C5240 41000007
	ds_read_b32 v66, v7 offset:21120                           // 000000013648: D86C5280 42000007
	ds_read_b32 v67, v7 offset:21184                           // 000000013650: D86C52C0 43000007
	ds_read_b32 v68, v7 offset:21248                           // 000000013658: D86C5300 44000007
	ds_read_b32 v69, v7 offset:21312                           // 000000013660: D86C5340 45000007
	ds_read_b32 v70, v7 offset:21376                           // 000000013668: D86C5380 46000007
	ds_read_b32 v71, v7 offset:21440                           // 000000013670: D86C53C0 47000007
	ds_read_b32 v72, v7 offset:21504                           // 000000013678: D86C5400 48000007
	ds_read_b32 v73, v7 offset:21568                           // 000000013680: D86C5440 49000007
	ds_read_b32 v74, v7 offset:21632                           // 000000013688: D86C5480 4A000007
	ds_read_b32 v75, v7 offset:21696                           // 000000013690: D86C54C0 4B000007
	ds_read_b32 v76, v7 offset:21760                           // 000000013698: D86C5500 4C000007
	ds_read_b32 v77, v7 offset:21824                           // 0000000136A0: D86C5540 4D000007
	ds_read_b32 v78, v7 offset:21888                           // 0000000136A8: D86C5580 4E000007
	ds_read_b32 v79, v7 offset:21952                           // 0000000136B0: D86C55C0 4F000007
	v_mul_f32_e32 v40, v51, v40                                // 0000000136B8: 0A505133
	v_mov_b32_e32 v15, v144                                    // 0000000136BC: 7E1E0390
	v_add_f32_e32 v15, v145, v15                               // 0000000136C0: 021E1F91
	v_add_f32_e32 v15, v146, v15                               // 0000000136C4: 021E1F92
	v_add_f32_e32 v15, v147, v15                               // 0000000136C8: 021E1F93
	v_add_f32_e32 v15, v148, v15                               // 0000000136CC: 021E1F94
	v_add_f32_e32 v15, v149, v15                               // 0000000136D0: 021E1F95
	v_add_f32_e32 v15, v150, v15                               // 0000000136D4: 021E1F96
	v_add_f32_e32 v15, v151, v15                               // 0000000136D8: 021E1F97
	v_add_f32_e32 v15, v152, v15                               // 0000000136DC: 021E1F98
	v_add_f32_e32 v15, v153, v15                               // 0000000136E0: 021E1F99
	v_add_f32_e32 v15, v154, v15                               // 0000000136E4: 021E1F9A
	v_add_f32_e32 v15, v155, v15                               // 0000000136E8: 021E1F9B
	v_add_f32_e32 v15, v156, v15                               // 0000000136EC: 021E1F9C
	v_add_f32_e32 v15, v157, v15                               // 0000000136F0: 021E1F9D
	v_add_f32_e32 v15, v158, v15                               // 0000000136F4: 021E1F9E
	v_add_f32_e32 v15, v159, v15                               // 0000000136F8: 021E1F9F
	v_add_f32_e32 v40, v15, v40                                // 0000000136FC: 0250510F
	s_waitcnt lgkmcnt(0)                                       // 000000013700: BF8CC07F
	v_max3_f32 v48, |v64|, |v65|, v48                          // 000000013704: D1D30330 04C28340
	v_max3_f32 v48, |v66|, |v67|, v48                          // 00000001370C: D1D30330 04C28742
	v_max3_f32 v48, |v68|, |v69|, v48                          // 000000013714: D1D30330 04C28B44
	v_max3_f32 v48, |v70|, |v71|, v48                          // 00000001371C: D1D30330 04C28F46
	v_max3_f32 v48, |v72|, |v73|, v48                          // 000000013724: D1D30330 04C29348
	v_max3_f32 v48, |v74|, |v75|, v48                          // 00000001372C: D1D30330 04C2974A
	v_max3_f32 v48, |v76|, |v77|, v48                          // 000000013734: D1D30330 04C29B4C
	v_max3_f32 v48, |v78|, |v79|, v48                          // 00000001373C: D1D30330 04C29F4E
	s_nop 2                                                    // 000000013744: BF800002
	v_rcp_f32_e32 v48, v48                                     // 000000013748: 7E604530
	s_nop 1                                                    // 00000001374C: BF800001
	v_mul_f32_e32 v48, 0x42fe0000, v48                         // 000000013750: 0A6060FF 42FE0000
	v_mul_f32_e32 v144, v48, v240                              // 000000013758: 0B21E130
	v_mul_f32_e32 v145, v48, v241                              // 00000001375C: 0B23E330
	v_mul_f32_e32 v146, v48, v242                              // 000000013760: 0B25E530
	v_mul_f32_e32 v147, v48, v243                              // 000000013764: 0B27E730
	v_mul_f32_e32 v148, v48, v244                              // 000000013768: 0B29E930
	v_mul_f32_e32 v149, v48, v245                              // 00000001376C: 0B2BEB30
	v_mul_f32_e32 v150, v48, v246                              // 000000013770: 0B2DED30
	v_mul_f32_e32 v151, v48, v247                              // 000000013774: 0B2FEF30
	v_mul_f32_e32 v152, v48, v248                              // 000000013778: 0B31F130
	v_mul_f32_e32 v153, v48, v249                              // 00000001377C: 0B33F330
	v_mul_f32_e32 v154, v48, v250                              // 000000013780: 0B35F530
	v_mul_f32_e32 v155, v48, v251                              // 000000013784: 0B37F730
	v_mul_f32_e32 v156, v48, v252                              // 000000013788: 0B39F930
	v_mul_f32_e32 v157, v48, v253                              // 00000001378C: 0B3BFB30
	v_mul_f32_e32 v158, v48, v254                              // 000000013790: 0B3DFD30
	v_mul_f32_e32 v159, v48, v255                              // 000000013794: 0B3FFF30
	v_cvt_i32_f32_e32 v144, v144                               // 000000013798: 7F201190
	v_cvt_i32_f32_e32 v145, v145                               // 00000001379C: 7F221191
	v_cvt_i32_f32_e32 v146, v146                               // 0000000137A0: 7F241192
	v_cvt_i32_f32_e32 v147, v147                               // 0000000137A4: 7F261193
	v_cvt_i32_f32_e32 v148, v148                               // 0000000137A8: 7F281194
	v_cvt_i32_f32_e32 v149, v149                               // 0000000137AC: 7F2A1195
	v_cvt_i32_f32_e32 v150, v150                               // 0000000137B0: 7F2C1196
	v_cvt_i32_f32_e32 v151, v151                               // 0000000137B4: 7F2E1197
	v_cvt_i32_f32_e32 v152, v152                               // 0000000137B8: 7F301198
	v_cvt_i32_f32_e32 v153, v153                               // 0000000137BC: 7F321199
	v_cvt_i32_f32_e32 v154, v154                               // 0000000137C0: 7F34119A
	v_cvt_i32_f32_e32 v155, v155                               // 0000000137C4: 7F36119B
	v_cvt_i32_f32_e32 v156, v156                               // 0000000137C8: 7F38119C
	v_cvt_i32_f32_e32 v157, v157                               // 0000000137CC: 7F3A119D
	v_cvt_i32_f32_e32 v158, v158                               // 0000000137D0: 7F3C119E
	v_cvt_i32_f32_e32 v159, v159                               // 0000000137D4: 7F3E119F
	v_perm_b32 v144, v145, v144, s53                           // 0000000137D8: D1ED0090 00D72191
	v_perm_b32 v144, v146, v144, s54                           // 0000000137E0: D1ED0090 00DB2192
	v_perm_b32 v144, v147, v144, s55                           // 0000000137E8: D1ED0090 00DF2193
	v_perm_b32 v145, v149, v148, s53                           // 0000000137F0: D1ED0091 00D72995
	v_perm_b32 v145, v150, v145, s54                           // 0000000137F8: D1ED0091 00DB2396
	v_perm_b32 v145, v151, v145, s55                           // 000000013800: D1ED0091 00DF2397
	v_perm_b32 v146, v153, v152, s53                           // 000000013808: D1ED0092 00D73199
	v_perm_b32 v146, v154, v146, s54                           // 000000013810: D1ED0092 00DB259A
	v_perm_b32 v146, v155, v146, s55                           // 000000013818: D1ED0092 00DF259B
	v_perm_b32 v147, v157, v156, s53                           // 000000013820: D1ED0093 00D7399D
	v_perm_b32 v147, v158, v147, s54                           // 000000013828: D1ED0093 00DB279E
	v_perm_b32 v147, v159, v147, s55                           // 000000013830: D1ED0093 00DF279F
	ds_write_b32 v10, v144 offset:33280                        // 000000013838: D81A8200 0000900A
	ds_write_b32 v10, v145 offset:34304                        // 000000013840: D81A8600 0000910A
	ds_write_b32 v10, v146 offset:35328                        // 000000013848: D81A8A00 0000920A
	ds_write_b32 v10, v147 offset:36352                        // 000000013850: D81A8E00 0000930A
	v_add_f32_e32 v224, v224, v192                             // 000000013858: 03C181E0
	v_add_f32_e32 v225, v225, v193                             // 00000001385C: 03C383E1
	v_add_f32_e32 v226, v226, v194                             // 000000013860: 03C585E2
	v_add_f32_e32 v227, v227, v195                             // 000000013864: 03C787E3
	v_add_f32_e32 v228, v228, v196                             // 000000013868: 03C989E4
	v_add_f32_e32 v229, v229, v197                             // 00000001386C: 03CB8BE5
	v_add_f32_e32 v230, v230, v198                             // 000000013870: 03CD8DE6
	v_add_f32_e32 v231, v231, v199                             // 000000013874: 03CF8FE7
	v_rcp_f32_e32 v46, v48                                     // 000000013878: 7E5C4530
	s_waitcnt lgkmcnt(0)                                       // 00000001387C: BF8CC07F
	s_barrier                                                  // 000000013880: BF8A0000
	ds_read_b64 v[144:145], v9 offset:33280                    // 000000013884: D8EC8200 90000009
	ds_read_b64 v[146:147], v9 offset:33408                    // 00000001388C: D8EC8280 92000009
	ds_read_b64 v[148:149], v9 offset:34304                    // 000000013894: D8EC8600 94000009
	ds_read_b64 v[150:151], v9 offset:34432                    // 00000001389C: D8EC8680 96000009
	ds_read_b64 v[152:153], v9 offset:35328                    // 0000000138A4: D8EC8A00 98000009
	ds_read_b64 v[154:155], v9 offset:35456                    // 0000000138AC: D8EC8A80 9A000009
	ds_read_b64 v[156:157], v9 offset:36352                    // 0000000138B4: D8EC8E00 9C000009
	ds_read_b64 v[158:159], v9 offset:36480                    // 0000000138BC: D8EC8E80 9E000009
	s_waitcnt vmcnt(15)                                        // 0000000138C4: BF8C0F7F
	v_mfma_i32_16x16x32_i8 v[176:179], a[64:65], v[112:113], 0 // 0000000138C8: D3D700B0 0A02E140
	v_mfma_i32_16x16x32_i8 v[176:179], a[66:67], v[114:115], v[176:179]// 0000000138D0: D3D700B0 0EC2E542
	buffer_load_dwordx4 a[112:115], v34, s[20:23], 0 offen offset:1024// 0000000138D8: E05C1400 80857022
	v_mfma_i32_16x16x32_i8 v[176:179], a[68:69], v[116:117], v[176:179]// 0000000138E0: D3D700B0 0EC2E944
	v_mfma_i32_16x16x32_i8 v[176:179], a[70:71], v[118:119], v[176:179]// 0000000138E8: D3D700B0 0EC2ED46
	v_mfma_i32_16x16x32_i8 v[176:179], a[72:73], v[120:121], v[176:179]// 0000000138F0: D3D700B0 0EC2F148
	v_mfma_i32_16x16x32_i8 v[176:179], a[74:75], v[122:123], v[176:179]// 0000000138F8: D3D700B0 0EC2F54A
	buffer_load_dwordx4 a[116:119], v35, s[20:23], 0 offen offset:1024// 000000013900: E05C1400 80857423
	v_mfma_i32_16x16x32_i8 v[176:179], a[76:77], v[124:125], v[176:179]// 000000013908: D3D700B0 0EC2F94C
	v_mfma_i32_16x16x32_i8 v[176:179], a[78:79], v[126:127], v[176:179]// 000000013910: D3D700B0 0EC2FD4E
	v_mfma_i32_16x16x32_i8 v[180:183], a[80:81], v[112:113], 0 // 000000013918: D3D700B4 0A02E150
	v_mfma_i32_16x16x32_i8 v[180:183], a[82:83], v[114:115], v[180:183]// 000000013920: D3D700B4 0ED2E552
	buffer_load_dwordx4 a[120:123], v36, s[20:23], 0 offen offset:1024// 000000013928: E05C1400 80857824
	v_mfma_i32_16x16x32_i8 v[180:183], a[84:85], v[116:117], v[180:183]// 000000013930: D3D700B4 0ED2E954
	v_mfma_i32_16x16x32_i8 v[180:183], a[86:87], v[118:119], v[180:183]// 000000013938: D3D700B4 0ED2ED56
	v_mfma_i32_16x16x32_i8 v[180:183], a[88:89], v[120:121], v[180:183]// 000000013940: D3D700B4 0ED2F158
	v_mfma_i32_16x16x32_i8 v[180:183], a[90:91], v[122:123], v[180:183]// 000000013948: D3D700B4 0ED2F55A
	buffer_load_dwordx4 a[124:127], v37, s[20:23], 0 offen offset:1024// 000000013950: E05C1400 80857C25
	v_mfma_i32_16x16x32_i8 v[180:183], a[92:93], v[124:125], v[180:183]// 000000013958: D3D700B4 0ED2F95C
	s_lshr_b32 s57, s70, 4                                     // 000000013960: 8F398446
	s_add_u32 s57, 48, s57                                     // 000000013964: 803939B0
	v_mfma_i32_16x16x32_i8 v[180:183], a[94:95], v[126:127], v[180:183]// 000000013968: D3D700B4 0ED2FD5E
	s_cmp_ge_u32 s57, s73                                      // 000000013970: BF094939
	s_cselect_b32 s56, 0, s56                                  // 000000013974: 85383880
	v_mfma_i32_16x16x32_i8 v[184:187], a[64:65], v[128:129], 0 // 000000013978: D3D700B8 0A030140
	v_mfma_i32_16x16x32_i8 v[184:187], a[66:67], v[130:131], v[184:187]// 000000013980: D3D700B8 0EE30542
	v_mfma_i32_16x16x32_i8 v[184:187], a[68:69], v[132:133], v[184:187]// 000000013988: D3D700B8 0EE30944
	v_mfma_i32_16x16x32_i8 v[184:187], a[70:71], v[134:135], v[184:187]// 000000013990: D3D700B8 0EE30D46
	v_mfma_i32_16x16x32_i8 v[184:187], a[72:73], v[136:137], v[184:187]// 000000013998: D3D700B8 0EE31148
	v_mfma_i32_16x16x32_i8 v[184:187], a[74:75], v[138:139], v[184:187]// 0000000139A0: D3D700B8 0EE3154A
	v_mfma_i32_16x16x32_i8 v[184:187], a[76:77], v[140:141], v[184:187]// 0000000139A8: D3D700B8 0EE3194C
	v_mfma_i32_16x16x32_i8 v[184:187], a[78:79], v[142:143], v[184:187]// 0000000139B0: D3D700B8 0EE31D4E
	v_mfma_i32_16x16x32_i8 v[188:191], a[80:81], v[128:129], 0 // 0000000139B8: D3D700BC 0A030150
	v_mfma_i32_16x16x32_i8 v[188:191], a[82:83], v[130:131], v[188:191]// 0000000139C0: D3D700BC 0EF30552
	v_mfma_i32_16x16x32_i8 v[188:191], a[84:85], v[132:133], v[188:191]// 0000000139C8: D3D700BC 0EF30954
	v_mfma_i32_16x16x32_i8 v[188:191], a[86:87], v[134:135], v[188:191]// 0000000139D0: D3D700BC 0EF30D56
	v_mfma_i32_16x16x32_i8 v[188:191], a[88:89], v[136:137], v[188:191]// 0000000139D8: D3D700BC 0EF31158
	v_mfma_i32_16x16x32_i8 v[188:191], a[90:91], v[138:139], v[188:191]// 0000000139E0: D3D700BC 0EF3155A
	v_mfma_i32_16x16x32_i8 v[188:191], a[92:93], v[140:141], v[188:191]// 0000000139E8: D3D700BC 0EF3195C
	v_mfma_i32_16x16x32_i8 v[188:191], a[94:95], v[142:143], v[188:191]// 0000000139F0: D3D700BC 0EF31D5E
	v_mfma_i32_16x16x32_i8 v[192:195], a[64:65], v[144:145], 0 // 0000000139F8: D3D700C0 0A032140
	v_mfma_i32_16x16x32_i8 v[192:195], a[66:67], v[146:147], v[192:195]// 000000013A00: D3D700C0 0F032542
	v_mfma_i32_16x16x32_i8 v[192:195], a[68:69], v[148:149], v[192:195]// 000000013A08: D3D700C0 0F032944
	v_mfma_i32_16x16x32_i8 v[192:195], a[70:71], v[150:151], v[192:195]// 000000013A10: D3D700C0 0F032D46
	v_mfma_i32_16x16x32_i8 v[192:195], a[72:73], v[152:153], v[192:195]// 000000013A18: D3D700C0 0F033148
	v_mfma_i32_16x16x32_i8 v[192:195], a[74:75], v[154:155], v[192:195]// 000000013A20: D3D700C0 0F03354A
	v_mfma_i32_16x16x32_i8 v[192:195], a[76:77], v[156:157], v[192:195]// 000000013A28: D3D700C0 0F03394C
	v_mfma_i32_16x16x32_i8 v[192:195], a[78:79], v[158:159], v[192:195]// 000000013A30: D3D700C0 0F033D4E
	v_mfma_i32_16x16x32_i8 v[196:199], a[80:81], v[144:145], 0 // 000000013A38: D3D700C4 0A032150
	v_mfma_i32_16x16x32_i8 v[196:199], a[82:83], v[146:147], v[196:199]// 000000013A40: D3D700C4 0F132552
	v_mfma_i32_16x16x32_i8 v[196:199], a[84:85], v[148:149], v[196:199]// 000000013A48: D3D700C4 0F132954
	v_mfma_i32_16x16x32_i8 v[196:199], a[86:87], v[150:151], v[196:199]// 000000013A50: D3D700C4 0F132D56
	v_mfma_i32_16x16x32_i8 v[196:199], a[88:89], v[152:153], v[196:199]// 000000013A58: D3D700C4 0F133158
	v_mfma_i32_16x16x32_i8 v[196:199], a[90:91], v[154:155], v[196:199]// 000000013A60: D3D700C4 0F13355A
	v_mfma_i32_16x16x32_i8 v[196:199], a[92:93], v[156:157], v[196:199]// 000000013A68: D3D700C4 0F13395C
	v_mfma_i32_16x16x32_i8 v[196:199], a[94:95], v[158:159], v[196:199]// 000000013A70: D3D700C4 0F133D5E
	v_add_u32_e32 v1, s56, v1                                  // 000000013A78: 68020238
	s_addk_i32 s70, 0x100                                      // 000000013A7C: B7460100
	s_cmp_lt_i32 s70, s71                                      // 000000013A80: BF044746
	s_cbranch_scc0 label_4E43                                  // 000000013A84: BF840821
	s_waitcnt vmcnt(8) lgkmcnt(0)                              // 000000013A88: BF8C0078
	v_mul_u32_u24_dpp v64, v16, v54 row_newbcast:0 row_mask:0xf bank_mask:0xf// 000000013A8C: 10806CFA FF015010
	v_mul_u32_u24_dpp v65, v16, v54 row_newbcast:4 row_mask:0xf bank_mask:0xf// 000000013A94: 10826CFA FF015410
	v_mul_u32_u24_dpp v66, v16, v54 row_newbcast:8 row_mask:0xf bank_mask:0xf// 000000013A9C: 10846CFA FF015810
	v_mul_u32_u24_dpp v67, v16, v54 row_newbcast:12 row_mask:0xf bank_mask:0xf// 000000013AA4: 10866CFA FF015C10
	v_add_u32_e32 v22, v64, v5                                 // 000000013AAC: 682C0B40
	v_add_u32_e32 v23, v65, v5                                 // 000000013AB0: 682E0B41
	v_add_u32_e32 v24, v66, v5                                 // 000000013AB4: 68300B42
	v_add_u32_e32 v25, v67, v5                                 // 000000013AB8: 68320B43
	v_mul_u32_u24_dpp v64, v16, v63 quad_perm:[0,0,0,0] row_mask:0xf bank_mask:0xf// 000000013ABC: 10807EFA FF000010
	v_add_u32_e32 v2, v64, v59                                 // 000000013AC4: 68047740
	v_mul_u32_u24_dpp v64, v16, v63 quad_perm:[0,0,0,0] row_mask:0xf bank_mask:0xf// 000000013AC8: 10807EFA FF000010
	v_add_u32_e32 v55, v64, v60                                // 000000013AD0: 686E7940
	v_mfma_i32_16x16x32_i8 v[112:115], a[32:33], v[80:81], 0   // 000000013AD4: D3D70070 0A02A120
	v_mfma_i32_16x16x32_i8 v[112:115], a[34:35], v[82:83], v[112:115]// 000000013ADC: D3D70070 0DC2A522
	buffer_load_dwordx4 a[0:3], v22, s[16:19], 0 offen         // 000000013AE4: E05C1000 80840016
	v_mfma_i32_16x16x32_i8 v[112:115], a[36:37], v[84:85], v[112:115]// 000000013AEC: D3D70070 0DC2A924
	v_mfma_i32_16x16x32_i8 v[112:115], a[38:39], v[86:87], v[112:115]// 000000013AF4: D3D70070 0DC2AD26
	buffer_load_dword v17, v1, s[24:27], 0 offen               // 000000013AFC: E0501000 80061101
	v_mfma_i32_16x16x32_i8 v[116:119], a[40:41], v[80:81], 0   // 000000013B04: D3D70074 0A02A128
	v_mfma_i32_16x16x32_i8 v[116:119], a[42:43], v[82:83], v[116:119]// 000000013B0C: D3D70074 0DD2A52A
	buffer_load_dwordx4 a[4:7], v22, s[16:19], 0 offen offset:1024// 000000013B14: E05C1400 80840416
	v_mfma_i32_16x16x32_i8 v[116:119], a[44:45], v[84:85], v[116:119]// 000000013B1C: D3D70074 0DD2A92C
	v_mfma_i32_16x16x32_i8 v[116:119], a[46:47], v[86:87], v[116:119]// 000000013B24: D3D70074 0DD2AD2E
	v_mfma_i32_16x16x32_i8 v[120:123], a[48:49], v[80:81], 0   // 000000013B2C: D3D70078 0A02A130
	v_mfma_i32_16x16x32_i8 v[120:123], a[50:51], v[82:83], v[120:123]// 000000013B34: D3D70078 0DE2A532
	buffer_load_dwordx4 a[8:11], v23, s[16:19], 0 offen        // 000000013B3C: E05C1000 80840817
	v_mfma_i32_16x16x32_i8 v[120:123], a[52:53], v[84:85], v[120:123]// 000000013B44: D3D70078 0DE2A934
	v_mfma_i32_16x16x32_i8 v[120:123], a[54:55], v[86:87], v[120:123]// 000000013B4C: D3D70078 0DE2AD36
	v_mfma_i32_16x16x32_i8 v[124:127], a[56:57], v[80:81], 0   // 000000013B54: D3D7007C 0A02A138
	v_mfma_i32_16x16x32_i8 v[124:127], a[58:59], v[82:83], v[124:127]// 000000013B5C: D3D7007C 0DF2A53A
	buffer_load_dwordx4 a[12:15], v23, s[16:19], 0 offen offset:1024// 000000013B64: E05C1400 80840C17
	v_mfma_i32_16x16x32_i8 v[124:127], a[60:61], v[84:85], v[124:127]// 000000013B6C: D3D7007C 0DF2A93C
	v_mfma_i32_16x16x32_i8 v[124:127], a[62:63], v[86:87], v[124:127]// 000000013B74: D3D7007C 0DF2AD3E
	v_mfma_i32_16x16x32_i8 v[128:131], a[32:33], v[88:89], 0   // 000000013B7C: D3D70080 0A02B120
	v_mfma_i32_16x16x32_i8 v[128:131], a[34:35], v[90:91], v[128:131]// 000000013B84: D3D70080 0E02B522
	v_mfma_i32_16x16x32_i8 v[128:131], a[36:37], v[92:93], v[128:131]// 000000013B8C: D3D70080 0E02B924
	v_mfma_i32_16x16x32_i8 v[128:131], a[38:39], v[94:95], v[128:131]// 000000013B94: D3D70080 0E02BD26
	v_mfma_i32_16x16x32_i8 v[132:135], a[40:41], v[88:89], 0   // 000000013B9C: D3D70084 0A02B128
	v_mfma_i32_16x16x32_i8 v[132:135], a[42:43], v[90:91], v[132:135]// 000000013BA4: D3D70084 0E12B52A
	v_mfma_i32_16x16x32_i8 v[132:135], a[44:45], v[92:93], v[132:135]// 000000013BAC: D3D70084 0E12B92C
	v_mfma_i32_16x16x32_i8 v[132:135], a[46:47], v[94:95], v[132:135]// 000000013BB4: D3D70084 0E12BD2E
	v_mfma_i32_16x16x32_i8 v[136:139], a[48:49], v[88:89], 0   // 000000013BBC: D3D70088 0A02B130
	v_mfma_i32_16x16x32_i8 v[136:139], a[50:51], v[90:91], v[136:139]// 000000013BC4: D3D70088 0E22B532
	v_mfma_i32_16x16x32_i8 v[136:139], a[52:53], v[92:93], v[136:139]// 000000013BCC: D3D70088 0E22B934
	v_mfma_i32_16x16x32_i8 v[136:139], a[54:55], v[94:95], v[136:139]// 000000013BD4: D3D70088 0E22BD36
	v_mfma_i32_16x16x32_i8 v[140:143], a[56:57], v[88:89], 0   // 000000013BDC: D3D7008C 0A02B138
	v_mfma_i32_16x16x32_i8 v[140:143], a[58:59], v[90:91], v[140:143]// 000000013BE4: D3D7008C 0E32B53A
	v_mfma_i32_16x16x32_i8 v[140:143], a[60:61], v[92:93], v[140:143]// 000000013BEC: D3D7008C 0E32B93C
	v_mfma_i32_16x16x32_i8 v[140:143], a[62:63], v[94:95], v[140:143]// 000000013BF4: D3D7008C 0E32BD3E
	v_mfma_i32_16x16x32_i8 v[144:147], a[32:33], v[96:97], 0   // 000000013BFC: D3D70090 0A02C120
	v_mfma_i32_16x16x32_i8 v[144:147], a[34:35], v[98:99], v[144:147]// 000000013C04: D3D70090 0E42C522
	v_mfma_i32_16x16x32_i8 v[144:147], a[36:37], v[100:101], v[144:147]// 000000013C0C: D3D70090 0E42C924
	v_mfma_i32_16x16x32_i8 v[144:147], a[38:39], v[102:103], v[144:147]// 000000013C14: D3D70090 0E42CD26
	v_mfma_i32_16x16x32_i8 v[148:151], a[40:41], v[96:97], 0   // 000000013C1C: D3D70094 0A02C128
	v_mfma_i32_16x16x32_i8 v[148:151], a[42:43], v[98:99], v[148:151]// 000000013C24: D3D70094 0E52C52A
	v_mfma_i32_16x16x32_i8 v[148:151], a[44:45], v[100:101], v[148:151]// 000000013C2C: D3D70094 0E52C92C
	v_mfma_i32_16x16x32_i8 v[148:151], a[46:47], v[102:103], v[148:151]// 000000013C34: D3D70094 0E52CD2E
	v_mfma_i32_16x16x32_i8 v[152:155], a[48:49], v[96:97], 0   // 000000013C3C: D3D70098 0A02C130
	v_mfma_i32_16x16x32_i8 v[152:155], a[50:51], v[98:99], v[152:155]// 000000013C44: D3D70098 0E62C532
	v_mfma_i32_16x16x32_i8 v[152:155], a[52:53], v[100:101], v[152:155]// 000000013C4C: D3D70098 0E62C934
	v_mfma_i32_16x16x32_i8 v[152:155], a[54:55], v[102:103], v[152:155]// 000000013C54: D3D70098 0E62CD36
	v_mfma_i32_16x16x32_i8 v[156:159], a[56:57], v[96:97], 0   // 000000013C5C: D3D7009C 0A02C138
	v_mfma_i32_16x16x32_i8 v[156:159], a[58:59], v[98:99], v[156:159]// 000000013C64: D3D7009C 0E72C53A
	v_mfma_i32_16x16x32_i8 v[156:159], a[60:61], v[100:101], v[156:159]// 000000013C6C: D3D7009C 0E72C93C
	v_mfma_i32_16x16x32_i8 v[156:159], a[62:63], v[102:103], v[156:159]// 000000013C74: D3D7009C 0E72CD3E
	buffer_load_dword v42, v2, s[32:35], 0 offen               // 000000013C7C: E0501000 80082A02
	v_mov_b32_dpp v64, v43 row_shr:4 row_mask:0xf bank_mask:0xf// 000000013C84: 7E8002FA FF01142B
	v_mov_b32_dpp v65, v43 row_shl:4 row_mask:0xf bank_mask:0xf// 000000013C8C: 7E8202FA FF01042B
	v_cndmask_b32_e64 v248, v43, v64, s[44:45]                 // 000000013C94: D10000F8 00B2812B
	v_cndmask_b32_e64 v249, v65, v43, s[44:45]                 // 000000013C9C: D10000F9 00B25741
	v_mov_b32_dpp v64, v248 row_shr:8 row_mask:0xf bank_mask:0xf// 000000013CA4: 7E8002FA FF0118F8
	v_mov_b32_dpp v65, v248 row_shl:8 row_mask:0xf bank_mask:0xf// 000000013CAC: 7E8202FA FF0108F8
	v_mov_b32_dpp v66, v249 row_shr:8 row_mask:0xf bank_mask:0xf// 000000013CB4: 7E8402FA FF0118F9
	v_mov_b32_dpp v67, v249 row_shl:8 row_mask:0xf bank_mask:0xf// 000000013CBC: 7E8602FA FF0108F9
	v_mov_b32_e32 v68, v248                                    // 000000013CC4: 7E8803F8
	v_mov_b32_e32 v69, v249                                    // 000000013CC8: 7E8A03F9
	v_cndmask_b32_e64 v248, v68, v64, s[42:43]                 // 000000013CCC: D10000F8 00AA8144
	v_cndmask_b32_e64 v250, v68, v65, s[78:79]                 // 000000013CD4: D10000FA 013A8344
	v_cndmask_b32_e64 v249, v69, v66, s[42:43]                 // 000000013CDC: D10000F9 00AA8545
	v_cndmask_b32_e64 v251, v69, v67, s[78:79]                 // 000000013CE4: D10000FB 013A8745
	v_mov_b32_dpp v64, v58 row_shr:4 row_mask:0xf bank_mask:0xf// 000000013CEC: 7E8002FA FF01143A
	v_mov_b32_dpp v65, v58 row_shl:4 row_mask:0xf bank_mask:0xf// 000000013CF4: 7E8202FA FF01043A
	v_cndmask_b32_e64 v252, v58, v64, s[44:45]                 // 000000013CFC: D10000FC 00B2813A
	v_cndmask_b32_e64 v253, v65, v58, s[44:45]                 // 000000013D04: D10000FD 00B27541
	v_mov_b32_dpp v64, v252 row_shr:8 row_mask:0xf bank_mask:0xf// 000000013D0C: 7E8002FA FF0118FC
	v_mov_b32_dpp v65, v252 row_shl:8 row_mask:0xf bank_mask:0xf// 000000013D14: 7E8202FA FF0108FC
	v_mov_b32_dpp v66, v253 row_shr:8 row_mask:0xf bank_mask:0xf// 000000013D1C: 7E8402FA FF0118FD
	v_mov_b32_dpp v67, v253 row_shl:8 row_mask:0xf bank_mask:0xf// 000000013D24: 7E8602FA FF0108FD
	v_mov_b32_e32 v68, v252                                    // 000000013D2C: 7E8803FC
	v_mov_b32_e32 v69, v253                                    // 000000013D30: 7E8A03FD
	v_cndmask_b32_e64 v252, v68, v64, s[42:43]                 // 000000013D34: D10000FC 00AA8144
	v_cndmask_b32_e64 v254, v68, v65, s[78:79]                 // 000000013D3C: D10000FE 013A8344
	v_cndmask_b32_e64 v253, v69, v66, s[42:43]                 // 000000013D44: D10000FD 00AA8545
	v_cndmask_b32_e64 v255, v69, v67, s[78:79]                 // 000000013D4C: D10000FF 013A8745
	buffer_load_dword v57, v55, s[36:39], 0 offen              // 000000013D54: E0501000 80093937
	v_cvt_f32_i32_e32 v112, v112                               // 000000013D5C: 7EE00B70
	v_cvt_f32_i32_e32 v113, v113                               // 000000013D60: 7EE20B71
	v_cvt_f32_i32_e32 v114, v114                               // 000000013D64: 7EE40B72
	v_cvt_f32_i32_e32 v115, v115                               // 000000013D68: 7EE60B73
	v_cvt_f32_i32_e32 v116, v116                               // 000000013D6C: 7EE80B74
	v_cvt_f32_i32_e32 v117, v117                               // 000000013D70: 7EEA0B75
	v_cvt_f32_i32_e32 v118, v118                               // 000000013D74: 7EEC0B76
	v_cvt_f32_i32_e32 v119, v119                               // 000000013D78: 7EEE0B77
	v_cvt_f32_i32_e32 v120, v120                               // 000000013D7C: 7EF00B78
	v_cvt_f32_i32_e32 v121, v121                               // 000000013D80: 7EF20B79
	v_cvt_f32_i32_e32 v122, v122                               // 000000013D84: 7EF40B7A
	v_cvt_f32_i32_e32 v123, v123                               // 000000013D88: 7EF60B7B
	v_cvt_f32_i32_e32 v124, v124                               // 000000013D8C: 7EF80B7C
	v_cvt_f32_i32_e32 v125, v125                               // 000000013D90: 7EFA0B7D
	v_cvt_f32_i32_e32 v126, v126                               // 000000013D94: 7EFC0B7E
	v_cvt_f32_i32_e32 v127, v127                               // 000000013D98: 7EFE0B7F
	v_mul_f32_e32 v112, v18, v112                              // 000000013D9C: 0AE0E112
	v_mul_f32_e32 v113, v18, v113                              // 000000013DA0: 0AE2E312
	v_mul_f32_e32 v114, v18, v114                              // 000000013DA4: 0AE4E512
	v_mul_f32_e32 v115, v18, v115                              // 000000013DA8: 0AE6E712
	v_mul_f32_e32 v116, v18, v116                              // 000000013DAC: 0AE8E912
	v_mul_f32_e32 v117, v18, v117                              // 000000013DB0: 0AEAEB12
	v_mul_f32_e32 v118, v18, v118                              // 000000013DB4: 0AECED12
	v_mul_f32_e32 v119, v18, v119                              // 000000013DB8: 0AEEEF12
	v_mul_f32_e32 v120, v18, v120                              // 000000013DBC: 0AF0F112
	v_mul_f32_e32 v121, v18, v121                              // 000000013DC0: 0AF2F312
	v_mul_f32_e32 v122, v18, v122                              // 000000013DC4: 0AF4F512
	v_mul_f32_e32 v123, v18, v123                              // 000000013DC8: 0AF6F712
	v_mul_f32_e32 v124, v18, v124                              // 000000013DCC: 0AF8F912
	v_mul_f32_e32 v125, v18, v125                              // 000000013DD0: 0AFAFB12
	v_mul_f32_e32 v126, v18, v126                              // 000000013DD4: 0AFCFD12
	v_mul_f32_e32 v127, v18, v127                              // 000000013DD8: 0AFEFF12
	buffer_load_dwordx4 a[16:19], v24, s[16:19], 0 offen       // 000000013DDC: E05C1000 80841018
	v_mul_f32_dpp v112, v248, v112 quad_perm:[0,0,0,0] row_mask:0xf bank_mask:0xf// 000000013DE4: 0AE0E0FA FF0000F8
	v_mul_f32_dpp v113, v248, v113 quad_perm:[1,1,1,1] row_mask:0xf bank_mask:0xf// 000000013DEC: 0AE2E2FA FF0055F8
	v_mul_f32_dpp v114, v248, v114 quad_perm:[2,2,2,2] row_mask:0xf bank_mask:0xf// 000000013DF4: 0AE4E4FA FF00AAF8
	v_mul_f32_dpp v115, v248, v115 quad_perm:[3,3,3,3] row_mask:0xf bank_mask:0xf// 000000013DFC: 0AE6E6FA FF00FFF8
	v_mul_f32_dpp v116, v249, v116 quad_perm:[0,0,0,0] row_mask:0xf bank_mask:0xf// 000000013E04: 0AE8E8FA FF0000F9
	v_mul_f32_dpp v117, v249, v117 quad_perm:[1,1,1,1] row_mask:0xf bank_mask:0xf// 000000013E0C: 0AEAEAFA FF0055F9
	v_mul_f32_dpp v118, v249, v118 quad_perm:[2,2,2,2] row_mask:0xf bank_mask:0xf// 000000013E14: 0AECECFA FF00AAF9
	v_mul_f32_dpp v119, v249, v119 quad_perm:[3,3,3,3] row_mask:0xf bank_mask:0xf// 000000013E1C: 0AEEEEFA FF00FFF9
	v_mul_f32_dpp v120, v250, v120 quad_perm:[0,0,0,0] row_mask:0xf bank_mask:0xf// 000000013E24: 0AF0F0FA FF0000FA
	v_mul_f32_dpp v121, v250, v121 quad_perm:[1,1,1,1] row_mask:0xf bank_mask:0xf// 000000013E2C: 0AF2F2FA FF0055FA
	v_mul_f32_dpp v122, v250, v122 quad_perm:[2,2,2,2] row_mask:0xf bank_mask:0xf// 000000013E34: 0AF4F4FA FF00AAFA
	v_mul_f32_dpp v123, v250, v123 quad_perm:[3,3,3,3] row_mask:0xf bank_mask:0xf// 000000013E3C: 0AF6F6FA FF00FFFA
	v_mul_f32_dpp v124, v251, v124 quad_perm:[0,0,0,0] row_mask:0xf bank_mask:0xf// 000000013E44: 0AF8F8FA FF0000FB
	v_mul_f32_dpp v125, v251, v125 quad_perm:[1,1,1,1] row_mask:0xf bank_mask:0xf// 000000013E4C: 0AFAFAFA FF0055FB
	v_mul_f32_dpp v126, v251, v126 quad_perm:[2,2,2,2] row_mask:0xf bank_mask:0xf// 000000013E54: 0AFCFCFA FF00AAFB
	v_mul_f32_dpp v127, v251, v127 quad_perm:[3,3,3,3] row_mask:0xf bank_mask:0xf// 000000013E5C: 0AFEFEFA FF00FFFB
	buffer_load_dwordx4 a[20:23], v24, s[16:19], 0 offen offset:1024// 000000013E64: E05C1400 80841418
	s_cmp_le_i32 s90, s89                                      // 000000013E6C: BF05595A
	s_cbranch_scc1 label_478E                                  // 000000013E70: BF850071
	v_mov_b32_e32 v66, 0xff800000                              // 000000013E74: 7E8402FF FF800000
	s_mov_b32 s60, s90                                         // 000000013E7C: BEBC005A
	s_add_u32 s61, s89, 0xff                                   // 000000013E80: 803DFF59 000000FF
	v_mov_b32_e32 v64, s61                                     // 000000013E88: 7E80023D
	v_lshrrev_b32_e32 v240, 4, v0                              // 000000013E8C: 21E00084
	v_mul_i32_i24_e32 v240, 4, v240                            // 000000013E90: 0DE1E084
	v_add_u32_e32 v240, s60, v240                              // 000000013E94: 69E1E03C
	s_mov_b32 s61, 0                                           // 000000013E98: BEBD0080
	s_mul_i32 s60, 16, s7                                      // 000000013E9C: 923C0790
	v_sub_u32_e64 v240, v240, s61                              // 000000013EA0: D13500F0 00007BF0
	v_add_u32_e32 v240, s60, v240                              // 000000013EA8: 69E1E03C
	v_add_u32_e32 v241, 1, v240                                // 000000013EAC: 69E3E081
	v_add_u32_e32 v242, 2, v240                                // 000000013EB0: 69E5E082
	v_add_u32_e32 v243, 3, v240                                // 000000013EB4: 69E7E083
	v_cmp_le_u32_e64 s[40:41], v240, v64                       // 000000013EB8: D0CB0028 000281F0
	v_add_u32_e32 v240, 64, v240                               // 000000013EC0: 69E1E0C0
	s_nop 0                                                    // 000000013EC4: BF800000
	v_cndmask_b32_e64 v112, v66, v112, s[40:41]                // 000000013EC8: D1000070 00A2E142
	v_cmp_le_u32_e64 s[40:41], v241, v64                       // 000000013ED0: D0CB0028 000281F1
	v_add_u32_e32 v241, 64, v241                               // 000000013ED8: 69E3E2C0
	s_nop 0                                                    // 000000013EDC: BF800000
	v_cndmask_b32_e64 v113, v66, v113, s[40:41]                // 000000013EE0: D1000071 00A2E342
	v_cmp_le_u32_e64 s[40:41], v242, v64                       // 000000013EE8: D0CB0028 000281F2
	v_add_u32_e32 v242, 64, v242                               // 000000013EF0: 69E5E4C0
	s_nop 0                                                    // 000000013EF4: BF800000
	v_cndmask_b32_e64 v114, v66, v114, s[40:41]                // 000000013EF8: D1000072 00A2E542
	v_cmp_le_u32_e64 s[40:41], v243, v64                       // 000000013F00: D0CB0028 000281F3
	v_add_u32_e32 v243, 64, v243                               // 000000013F08: 69E7E6C0
	s_nop 0                                                    // 000000013F0C: BF800000
	v_cndmask_b32_e64 v115, v66, v115, s[40:41]                // 000000013F10: D1000073 00A2E742
	v_cmp_le_u32_e64 s[40:41], v240, v64                       // 000000013F18: D0CB0028 000281F0
	v_add_u32_e32 v240, 64, v240                               // 000000013F20: 69E1E0C0
	s_nop 0                                                    // 000000013F24: BF800000
	v_cndmask_b32_e64 v116, v66, v116, s[40:41]                // 000000013F28: D1000074 00A2E942
	v_cmp_le_u32_e64 s[40:41], v241, v64                       // 000000013F30: D0CB0028 000281F1
	v_add_u32_e32 v241, 64, v241                               // 000000013F38: 69E3E2C0
	s_nop 0                                                    // 000000013F3C: BF800000
	v_cndmask_b32_e64 v117, v66, v117, s[40:41]                // 000000013F40: D1000075 00A2EB42
	v_cmp_le_u32_e64 s[40:41], v242, v64                       // 000000013F48: D0CB0028 000281F2
	v_add_u32_e32 v242, 64, v242                               // 000000013F50: 69E5E4C0
	s_nop 0                                                    // 000000013F54: BF800000
	v_cndmask_b32_e64 v118, v66, v118, s[40:41]                // 000000013F58: D1000076 00A2ED42
	v_cmp_le_u32_e64 s[40:41], v243, v64                       // 000000013F60: D0CB0028 000281F3
	v_add_u32_e32 v243, 64, v243                               // 000000013F68: 69E7E6C0
	s_nop 0                                                    // 000000013F6C: BF800000
	v_cndmask_b32_e64 v119, v66, v119, s[40:41]                // 000000013F70: D1000077 00A2EF42
	v_cmp_le_u32_e64 s[40:41], v240, v64                       // 000000013F78: D0CB0028 000281F0
	v_add_u32_e32 v240, 64, v240                               // 000000013F80: 69E1E0C0
	s_nop 0                                                    // 000000013F84: BF800000
	v_cndmask_b32_e64 v120, v66, v120, s[40:41]                // 000000013F88: D1000078 00A2F142
	v_cmp_le_u32_e64 s[40:41], v241, v64                       // 000000013F90: D0CB0028 000281F1
	v_add_u32_e32 v241, 64, v241                               // 000000013F98: 69E3E2C0
	s_nop 0                                                    // 000000013F9C: BF800000
	v_cndmask_b32_e64 v121, v66, v121, s[40:41]                // 000000013FA0: D1000079 00A2F342
	v_cmp_le_u32_e64 s[40:41], v242, v64                       // 000000013FA8: D0CB0028 000281F2
	v_add_u32_e32 v242, 64, v242                               // 000000013FB0: 69E5E4C0
	s_nop 0                                                    // 000000013FB4: BF800000
	v_cndmask_b32_e64 v122, v66, v122, s[40:41]                // 000000013FB8: D100007A 00A2F542
	v_cmp_le_u32_e64 s[40:41], v243, v64                       // 000000013FC0: D0CB0028 000281F3
	v_add_u32_e32 v243, 64, v243                               // 000000013FC8: 69E7E6C0
	s_nop 0                                                    // 000000013FCC: BF800000
	v_cndmask_b32_e64 v123, v66, v123, s[40:41]                // 000000013FD0: D100007B 00A2F742
	v_cmp_le_u32_e64 s[40:41], v240, v64                       // 000000013FD8: D0CB0028 000281F0
	v_add_u32_e32 v240, 64, v240                               // 000000013FE0: 69E1E0C0
	s_nop 0                                                    // 000000013FE4: BF800000
	v_cndmask_b32_e64 v124, v66, v124, s[40:41]                // 000000013FE8: D100007C 00A2F942
	v_cmp_le_u32_e64 s[40:41], v241, v64                       // 000000013FF0: D0CB0028 000281F1
	v_add_u32_e32 v241, 64, v241                               // 000000013FF8: 69E3E2C0
	s_nop 0                                                    // 000000013FFC: BF800000
	v_cndmask_b32_e64 v125, v66, v125, s[40:41]                // 000000014000: D100007D 00A2FB42
	v_cmp_le_u32_e64 s[40:41], v242, v64                       // 000000014008: D0CB0028 000281F2
	v_add_u32_e32 v242, 64, v242                               // 000000014010: 69E5E4C0
	s_nop 0                                                    // 000000014014: BF800000
	v_cndmask_b32_e64 v126, v66, v126, s[40:41]                // 000000014018: D100007E 00A2FD42
	v_cmp_le_u32_e64 s[40:41], v243, v64                       // 000000014020: D0CB0028 000281F3
	v_add_u32_e32 v243, 64, v243                               // 000000014028: 69E7E6C0
	s_nop 0                                                    // 00000001402C: BF800000
	v_cndmask_b32_e64 v127, v66, v127, s[40:41]                // 000000014030: D100007F 00A2FF42

0000000000014038 <label_478E>:
	v_mov_b32_e32 v48, v112                                    // 000000014038: 7E600370
	v_max3_f32 v48, v112, v113, v48                            // 00000001403C: D1D30030 04C2E370
	v_max3_f32 v48, v114, v115, v48                            // 000000014044: D1D30030 04C2E772
	v_max3_f32 v48, v116, v117, v48                            // 00000001404C: D1D30030 04C2EB74
	v_max3_f32 v48, v118, v119, v48                            // 000000014054: D1D30030 04C2EF76
	v_max3_f32 v48, v120, v121, v48                            // 00000001405C: D1D30030 04C2F378
	v_max3_f32 v48, v122, v123, v48                            // 000000014064: D1D30030 04C2F77A
	v_max3_f32 v48, v124, v125, v48                            // 00000001406C: D1D30030 04C2FB7C
	v_max3_f32 v48, v126, v127, v48                            // 000000014074: D1D30030 04C2FF7E
	ds_write_b32 v8, v48 offset:16896                          // 00000001407C: D81A4200 00003008
	buffer_load_dwordx4 a[24:27], v25, s[16:19], 0 offen       // 000000014084: E05C1000 80841819
	v_mul_u32_u24_dpp v64, v16, v54 row_newbcast:1 row_mask:0xf bank_mask:0xf// 00000001408C: 10806CFA FF015110
	v_mul_u32_u24_dpp v65, v16, v54 row_newbcast:5 row_mask:0xf bank_mask:0xf// 000000014094: 10826CFA FF015510
	v_mul_u32_u24_dpp v66, v16, v54 row_newbcast:9 row_mask:0xf bank_mask:0xf// 00000001409C: 10846CFA FF015910
	v_mul_u32_u24_dpp v67, v16, v54 row_newbcast:13 row_mask:0xf bank_mask:0xf// 0000000140A4: 10866CFA FF015D10
	v_add_u32_e32 v30, v64, v6                                 // 0000000140AC: 683C0D40
	v_add_u32_e32 v31, v65, v6                                 // 0000000140B0: 683E0D41
	v_add_u32_e32 v32, v66, v6                                 // 0000000140B4: 68400D42
	v_add_u32_e32 v33, v67, v6                                 // 0000000140B8: 68420D43
	v_mul_f32_e32 v208, v49, v208                              // 0000000140BC: 0BA1A131
	v_mul_f32_e32 v209, v49, v209                              // 0000000140C0: 0BA3A331
	v_mul_f32_e32 v210, v49, v210                              // 0000000140C4: 0BA5A531
	v_mul_f32_e32 v211, v49, v211                              // 0000000140C8: 0BA7A731
	v_mul_f32_e32 v212, v49, v212                              // 0000000140CC: 0BA9A931
	v_mul_f32_e32 v213, v49, v213                              // 0000000140D0: 0BABAB31
	v_mul_f32_e32 v214, v49, v214                              // 0000000140D4: 0BADAD31
	v_mul_f32_e32 v215, v49, v215                              // 0000000140D8: 0BAFAF31
	s_waitcnt lgkmcnt(0)                                       // 0000000140DC: BF8CC07F
	s_barrier                                                  // 0000000140E0: BF8A0000
	ds_read_b32 v64, v7 offset:16896                           // 0000000140E4: D86C4200 40000007
	ds_read_b32 v65, v7 offset:16960                           // 0000000140EC: D86C4240 41000007
	ds_read_b32 v66, v7 offset:17024                           // 0000000140F4: D86C4280 42000007
	ds_read_b32 v67, v7 offset:17088                           // 0000000140FC: D86C42C0 43000007
	ds_read_b32 v68, v7 offset:17152                           // 000000014104: D86C4300 44000007
	ds_read_b32 v69, v7 offset:17216                           // 00000001410C: D86C4340 45000007
	ds_read_b32 v70, v7 offset:17280                           // 000000014114: D86C4380 46000007
	ds_read_b32 v71, v7 offset:17344                           // 00000001411C: D86C43C0 47000007
	ds_read_b32 v72, v7 offset:17408                           // 000000014124: D86C4400 48000007
	ds_read_b32 v73, v7 offset:17472                           // 00000001412C: D86C4440 49000007
	ds_read_b32 v74, v7 offset:17536                           // 000000014134: D86C4480 4A000007
	ds_read_b32 v75, v7 offset:17600                           // 00000001413C: D86C44C0 4B000007
	ds_read_b32 v76, v7 offset:17664                           // 000000014144: D86C4500 4C000007
	ds_read_b32 v77, v7 offset:17728                           // 00000001414C: D86C4540 4D000007
	ds_read_b32 v78, v7 offset:17792                           // 000000014154: D86C4580 4E000007
	ds_read_b32 v79, v7 offset:17856                           // 00000001415C: D86C45C0 4F000007
	buffer_load_dwordx4 a[28:31], v25, s[16:19], 0 offen offset:1024// 000000014164: E05C1400 80841C19
	v_cvt_f32_i32_e32 v176, v176                               // 00000001416C: 7F600BB0
	v_cvt_f32_i32_e32 v177, v177                               // 000000014170: 7F620BB1
	v_cvt_f32_i32_e32 v178, v178                               // 000000014174: 7F640BB2
	v_cvt_f32_i32_e32 v179, v179                               // 000000014178: 7F660BB3
	v_cvt_f32_i32_e32 v180, v180                               // 00000001417C: 7F680BB4
	v_cvt_f32_i32_e32 v181, v181                               // 000000014180: 7F6A0BB5
	v_cvt_f32_i32_e32 v182, v182                               // 000000014184: 7F6C0BB6
	v_cvt_f32_i32_e32 v183, v183                               // 000000014188: 7F6E0BB7
	v_mul_f32_e32 v176, v44, v176                              // 00000001418C: 0B61612C
	v_mul_f32_e32 v177, v44, v177                              // 000000014190: 0B63632C
	v_mul_f32_e32 v178, v44, v178                              // 000000014194: 0B65652C
	v_mul_f32_e32 v179, v44, v179                              // 000000014198: 0B67672C
	v_mul_f32_e32 v180, v44, v180                              // 00000001419C: 0B69692C
	v_mul_f32_e32 v181, v44, v181                              // 0000000141A0: 0B6B6B2C
	v_mul_f32_e32 v182, v44, v182                              // 0000000141A4: 0B6D6D2C
	v_mul_f32_e32 v183, v44, v183                              // 0000000141A8: 0B6F6F2C
	s_waitcnt lgkmcnt(0)                                       // 0000000141AC: BF8CC07F
	v_max3_f32 v48, v64, v65, v48                              // 0000000141B0: D1D30030 04C28340
	v_max3_f32 v48, v66, v67, v48                              // 0000000141B8: D1D30030 04C28742
	v_max3_f32 v48, v68, v69, v48                              // 0000000141C0: D1D30030 04C28B44
	v_max3_f32 v48, v70, v71, v48                              // 0000000141C8: D1D30030 04C28F46
	v_max3_f32 v48, v72, v73, v48                              // 0000000141D0: D1D30030 04C29348
	v_max3_f32 v48, v74, v75, v48                              // 0000000141D8: D1D30030 04C2974A
	v_max3_f32 v48, v76, v77, v48                              // 0000000141E0: D1D30030 04C29B4C
	v_max3_f32 v48, v78, v79, v48                              // 0000000141E8: D1D30030 04C29F4E
	buffer_load_dwordx4 a[64:67], v30, s[20:23], 0 offen       // 0000000141F0: E05C1000 8085401E
	v_mov_b32_e32 v64, 0xff800000                              // 0000000141F8: 7E8002FF FF800000
	v_cmp_eq_u32_e64 s[40:41], v64, v11                        // 000000014200: D0CA0028 00021740
	s_nop 1                                                    // 000000014208: BF800001
	v_max_f32_e32 v15, v48, v11                                // 00000001420C: 161E1730
	v_mul_f32_e32 v53, s64, v15                                // 000000014210: 0A6A1E40
	v_fma_f32 v112, v112, s64, -v53                            // 000000014214: D1CB0070 84D48170
	v_fma_f32 v113, v113, s64, -v53                            // 00000001421C: D1CB0071 84D48171
	v_fma_f32 v114, v114, s64, -v53                            // 000000014224: D1CB0072 84D48172
	v_fma_f32 v115, v115, s64, -v53                            // 00000001422C: D1CB0073 84D48173
	v_fma_f32 v116, v116, s64, -v53                            // 000000014234: D1CB0074 84D48174
	v_fma_f32 v117, v117, s64, -v53                            // 00000001423C: D1CB0075 84D48175
	v_fma_f32 v118, v118, s64, -v53                            // 000000014244: D1CB0076 84D48176
	v_fma_f32 v119, v119, s64, -v53                            // 00000001424C: D1CB0077 84D48177
	v_fma_f32 v120, v120, s64, -v53                            // 000000014254: D1CB0078 84D48178
	v_fma_f32 v121, v121, s64, -v53                            // 00000001425C: D1CB0079 84D48179
	v_fma_f32 v122, v122, s64, -v53                            // 000000014264: D1CB007A 84D4817A
	v_fma_f32 v123, v123, s64, -v53                            // 00000001426C: D1CB007B 84D4817B
	v_fma_f32 v124, v124, s64, -v53                            // 000000014274: D1CB007C 84D4817C
	v_fma_f32 v125, v125, s64, -v53                            // 00000001427C: D1CB007D 84D4817D
	v_fma_f32 v126, v126, s64, -v53                            // 000000014284: D1CB007E 84D4817E
	v_fma_f32 v127, v127, s64, -v53                            // 00000001428C: D1CB007F 84D4817F
	buffer_load_dwordx4 a[68:71], v31, s[20:23], 0 offen       // 000000014294: E05C1000 8085441F
	v_exp_f32_e32 v112, v112                                   // 00000001429C: 7EE04170
	v_exp_f32_e32 v113, v113                                   // 0000000142A0: 7EE24171
	v_exp_f32_e32 v114, v114                                   // 0000000142A4: 7EE44172
	v_exp_f32_e32 v115, v115                                   // 0000000142A8: 7EE64173
	v_exp_f32_e32 v116, v116                                   // 0000000142AC: 7EE84174
	v_exp_f32_e32 v117, v117                                   // 0000000142B0: 7EEA4175
	v_exp_f32_e32 v118, v118                                   // 0000000142B4: 7EEC4176
	v_exp_f32_e32 v119, v119                                   // 0000000142B8: 7EEE4177
	v_exp_f32_e32 v120, v120                                   // 0000000142BC: 7EF04178
	v_exp_f32_e32 v121, v121                                   // 0000000142C0: 7EF24179
	v_exp_f32_e32 v122, v122                                   // 0000000142C4: 7EF4417A
	v_exp_f32_e32 v123, v123                                   // 0000000142C8: 7EF6417B
	v_exp_f32_e32 v124, v124                                   // 0000000142CC: 7EF8417C
	v_exp_f32_e32 v125, v125                                   // 0000000142D0: 7EFA417D
	v_exp_f32_e32 v126, v126                                   // 0000000142D4: 7EFC417E
	v_exp_f32_e32 v127, v127                                   // 0000000142D8: 7EFE417F
	buffer_load_dwordx4 a[72:75], v32, s[20:23], 0 offen       // 0000000142DC: E05C1000 80854820
	v_mul_f32_dpp v240, v252, v112 quad_perm:[0,0,0,0] row_mask:0xf bank_mask:0xf// 0000000142E4: 0BE0E0FA FF0000FC
	v_mul_f32_dpp v241, v252, v113 quad_perm:[1,1,1,1] row_mask:0xf bank_mask:0xf// 0000000142EC: 0BE2E2FA FF0055FC
	v_mul_f32_dpp v242, v252, v114 quad_perm:[2,2,2,2] row_mask:0xf bank_mask:0xf// 0000000142F4: 0BE4E4FA FF00AAFC
	v_mul_f32_dpp v243, v252, v115 quad_perm:[3,3,3,3] row_mask:0xf bank_mask:0xf// 0000000142FC: 0BE6E6FA FF00FFFC
	v_mul_f32_dpp v244, v253, v116 quad_perm:[0,0,0,0] row_mask:0xf bank_mask:0xf// 000000014304: 0BE8E8FA FF0000FD
	v_mul_f32_dpp v245, v253, v117 quad_perm:[1,1,1,1] row_mask:0xf bank_mask:0xf// 00000001430C: 0BEAEAFA FF0055FD
	v_mul_f32_dpp v246, v253, v118 quad_perm:[2,2,2,2] row_mask:0xf bank_mask:0xf// 000000014314: 0BECECFA FF00AAFD
	v_mul_f32_dpp v247, v253, v119 quad_perm:[3,3,3,3] row_mask:0xf bank_mask:0xf// 00000001431C: 0BEEEEFA FF00FFFD
	v_mul_f32_dpp v248, v254, v120 quad_perm:[0,0,0,0] row_mask:0xf bank_mask:0xf// 000000014324: 0BF0F0FA FF0000FE
	v_mul_f32_dpp v249, v254, v121 quad_perm:[1,1,1,1] row_mask:0xf bank_mask:0xf// 00000001432C: 0BF2F2FA FF0055FE
	v_mul_f32_dpp v250, v254, v122 quad_perm:[2,2,2,2] row_mask:0xf bank_mask:0xf// 000000014334: 0BF4F4FA FF00AAFE
	v_mul_f32_dpp v251, v254, v123 quad_perm:[3,3,3,3] row_mask:0xf bank_mask:0xf// 00000001433C: 0BF6F6FA FF00FFFE
	v_mul_f32_dpp v252, v255, v124 quad_perm:[0,0,0,0] row_mask:0xf bank_mask:0xf// 000000014344: 0BF8F8FA FF0000FF
	v_mul_f32_dpp v253, v255, v125 quad_perm:[1,1,1,1] row_mask:0xf bank_mask:0xf// 00000001434C: 0BFAFAFA FF0055FF
	v_mul_f32_dpp v254, v255, v126 quad_perm:[2,2,2,2] row_mask:0xf bank_mask:0xf// 000000014354: 0BFCFCFA FF00AAFF
	v_mul_f32_dpp v255, v255, v127 quad_perm:[3,3,3,3] row_mask:0xf bank_mask:0xf// 00000001435C: 0BFEFEFA FF00FFFF
	v_mov_b32_e32 v48, 0x358637bd                              // 000000014364: 7E6002FF 358637BD
	v_max3_f32 v48, |v240|, |v241|, v48                        // 00000001436C: D1D30330 04C3E3F0
	v_max3_f32 v48, |v242|, |v243|, v48                        // 000000014374: D1D30330 04C3E7F2
	v_max3_f32 v48, |v244|, |v245|, v48                        // 00000001437C: D1D30330 04C3EBF4
	v_max3_f32 v48, |v246|, |v247|, v48                        // 000000014384: D1D30330 04C3EFF6
	v_max3_f32 v48, |v248|, |v249|, v48                        // 00000001438C: D1D30330 04C3F3F8
	v_max3_f32 v48, |v250|, |v251|, v48                        // 000000014394: D1D30330 04C3F7FA
	v_max3_f32 v48, |v252|, |v253|, v48                        // 00000001439C: D1D30330 04C3FBFC
	v_max3_f32 v48, |v254|, |v255|, v48                        // 0000000143A4: D1D30330 04C3FFFE
	buffer_load_dwordx4 a[76:79], v33, s[20:23], 0 offen       // 0000000143AC: E05C1000 80854C21
	ds_write_b32 v8, v48 offset:20992                          // 0000000143B4: D81A5200 00003008
	v_sub_f32_e32 v49, v11, v15                                // 0000000143BC: 04621F0B
	v_cndmask_b32_e64 v49, v49, 0, s[40:41]                    // 0000000143C0: D1000031 00A10131
	v_mov_b32_e32 v11, v15                                     // 0000000143C8: 7E16030F
	v_mul_f32_e32 v49, s64, v49                                // 0000000143CC: 0A626240
	v_exp_f32_e32 v49, v49                                     // 0000000143D0: 7E624131
	s_waitcnt lgkmcnt(0)                                       // 0000000143D4: BF8CC07F
	s_barrier                                                  // 0000000143D8: BF8A0000
	ds_read_b32 v64, v7 offset:20992                           // 0000000143DC: D86C5200 40000007
	ds_read_b32 v65, v7 offset:21056                           // 0000000143E4: D86C5240 41000007
	ds_read_b32 v66, v7 offset:21120                           // 0000000143EC: D86C5280 42000007
	ds_read_b32 v67, v7 offset:21184                           // 0000000143F4: D86C52C0 43000007
	ds_read_b32 v68, v7 offset:21248                           // 0000000143FC: D86C5300 44000007
	ds_read_b32 v69, v7 offset:21312                           // 000000014404: D86C5340 45000007
	ds_read_b32 v70, v7 offset:21376                           // 00000001440C: D86C5380 46000007
	ds_read_b32 v71, v7 offset:21440                           // 000000014414: D86C53C0 47000007
	ds_read_b32 v72, v7 offset:21504                           // 00000001441C: D86C5400 48000007
	ds_read_b32 v73, v7 offset:21568                           // 000000014424: D86C5440 49000007
	ds_read_b32 v74, v7 offset:21632                           // 00000001442C: D86C5480 4A000007
	ds_read_b32 v75, v7 offset:21696                           // 000000014434: D86C54C0 4B000007
	ds_read_b32 v76, v7 offset:21760                           // 00000001443C: D86C5500 4C000007
	ds_read_b32 v77, v7 offset:21824                           // 000000014444: D86C5540 4D000007
	ds_read_b32 v78, v7 offset:21888                           // 00000001444C: D86C5580 4E000007
	ds_read_b32 v79, v7 offset:21952                           // 000000014454: D86C55C0 4F000007
	v_mul_f32_e32 v38, v49, v38                                // 00000001445C: 0A4C4D31
	v_mov_b32_e32 v15, v112                                    // 000000014460: 7E1E0370
	v_add_f32_e32 v15, v113, v15                               // 000000014464: 021E1F71
	v_add_f32_e32 v15, v114, v15                               // 000000014468: 021E1F72
	v_add_f32_e32 v15, v115, v15                               // 00000001446C: 021E1F73
	v_add_f32_e32 v15, v116, v15                               // 000000014470: 021E1F74
	v_add_f32_e32 v15, v117, v15                               // 000000014474: 021E1F75
	v_add_f32_e32 v15, v118, v15                               // 000000014478: 021E1F76
	v_add_f32_e32 v15, v119, v15                               // 00000001447C: 021E1F77
	v_add_f32_e32 v15, v120, v15                               // 000000014480: 021E1F78
	v_add_f32_e32 v15, v121, v15                               // 000000014484: 021E1F79
	v_add_f32_e32 v15, v122, v15                               // 000000014488: 021E1F7A
	v_add_f32_e32 v15, v123, v15                               // 00000001448C: 021E1F7B
	v_add_f32_e32 v15, v124, v15                               // 000000014490: 021E1F7C
	v_add_f32_e32 v15, v125, v15                               // 000000014494: 021E1F7D
	v_add_f32_e32 v15, v126, v15                               // 000000014498: 021E1F7E
	v_add_f32_e32 v15, v127, v15                               // 00000001449C: 021E1F7F
	v_add_f32_e32 v38, v15, v38                                // 0000000144A0: 024C4D0F
	s_waitcnt lgkmcnt(0)                                       // 0000000144A4: BF8CC07F
	v_max3_f32 v48, |v64|, |v65|, v48                          // 0000000144A8: D1D30330 04C28340
	v_max3_f32 v48, |v66|, |v67|, v48                          // 0000000144B0: D1D30330 04C28742
	v_max3_f32 v48, |v68|, |v69|, v48                          // 0000000144B8: D1D30330 04C28B44
	v_max3_f32 v48, |v70|, |v71|, v48                          // 0000000144C0: D1D30330 04C28F46
	v_max3_f32 v48, |v72|, |v73|, v48                          // 0000000144C8: D1D30330 04C29348
	v_max3_f32 v48, |v74|, |v75|, v48                          // 0000000144D0: D1D30330 04C2974A
	v_max3_f32 v48, |v76|, |v77|, v48                          // 0000000144D8: D1D30330 04C29B4C
	v_max3_f32 v48, |v78|, |v79|, v48                          // 0000000144E0: D1D30330 04C29F4E
	s_nop 2                                                    // 0000000144E8: BF800002
	v_rcp_f32_e32 v48, v48                                     // 0000000144EC: 7E604530
	s_nop 1                                                    // 0000000144F0: BF800001
	v_mul_f32_e32 v48, 0x42fe0000, v48                         // 0000000144F4: 0A6060FF 42FE0000
	v_mul_f32_e32 v112, v48, v240                              // 0000000144FC: 0AE1E130
	v_mul_f32_e32 v113, v48, v241                              // 000000014500: 0AE3E330
	v_mul_f32_e32 v114, v48, v242                              // 000000014504: 0AE5E530
	v_mul_f32_e32 v115, v48, v243                              // 000000014508: 0AE7E730
	v_mul_f32_e32 v116, v48, v244                              // 00000001450C: 0AE9E930
	v_mul_f32_e32 v117, v48, v245                              // 000000014510: 0AEBEB30
	v_mul_f32_e32 v118, v48, v246                              // 000000014514: 0AEDED30
	v_mul_f32_e32 v119, v48, v247                              // 000000014518: 0AEFEF30
	v_mul_f32_e32 v120, v48, v248                              // 00000001451C: 0AF1F130
	v_mul_f32_e32 v121, v48, v249                              // 000000014520: 0AF3F330
	v_mul_f32_e32 v122, v48, v250                              // 000000014524: 0AF5F530
	v_mul_f32_e32 v123, v48, v251                              // 000000014528: 0AF7F730
	v_mul_f32_e32 v124, v48, v252                              // 00000001452C: 0AF9F930
	v_mul_f32_e32 v125, v48, v253                              // 000000014530: 0AFBFB30
	v_mul_f32_e32 v126, v48, v254                              // 000000014534: 0AFDFD30
	v_mul_f32_e32 v127, v48, v255                              // 000000014538: 0AFFFF30
	v_cvt_i32_f32_e32 v112, v112                               // 00000001453C: 7EE01170
	v_cvt_i32_f32_e32 v113, v113                               // 000000014540: 7EE21171
	v_cvt_i32_f32_e32 v114, v114                               // 000000014544: 7EE41172
	v_cvt_i32_f32_e32 v115, v115                               // 000000014548: 7EE61173
	v_cvt_i32_f32_e32 v116, v116                               // 00000001454C: 7EE81174
	v_cvt_i32_f32_e32 v117, v117                               // 000000014550: 7EEA1175
	v_cvt_i32_f32_e32 v118, v118                               // 000000014554: 7EEC1176
	v_cvt_i32_f32_e32 v119, v119                               // 000000014558: 7EEE1177
	v_cvt_i32_f32_e32 v120, v120                               // 00000001455C: 7EF01178
	v_cvt_i32_f32_e32 v121, v121                               // 000000014560: 7EF21179
	v_cvt_i32_f32_e32 v122, v122                               // 000000014564: 7EF4117A
	v_cvt_i32_f32_e32 v123, v123                               // 000000014568: 7EF6117B
	v_cvt_i32_f32_e32 v124, v124                               // 00000001456C: 7EF8117C
	v_cvt_i32_f32_e32 v125, v125                               // 000000014570: 7EFA117D
	v_cvt_i32_f32_e32 v126, v126                               // 000000014574: 7EFC117E
	v_cvt_i32_f32_e32 v127, v127                               // 000000014578: 7EFE117F
	v_perm_b32 v112, v113, v112, s53                           // 00000001457C: D1ED0070 00D6E171
	v_perm_b32 v112, v114, v112, s54                           // 000000014584: D1ED0070 00DAE172
	v_perm_b32 v112, v115, v112, s55                           // 00000001458C: D1ED0070 00DEE173
	v_perm_b32 v113, v117, v116, s53                           // 000000014594: D1ED0071 00D6E975
	v_perm_b32 v113, v118, v113, s54                           // 00000001459C: D1ED0071 00DAE376
	v_perm_b32 v113, v119, v113, s55                           // 0000000145A4: D1ED0071 00DEE377
	v_perm_b32 v114, v121, v120, s53                           // 0000000145AC: D1ED0072 00D6F179
	v_perm_b32 v114, v122, v114, s54                           // 0000000145B4: D1ED0072 00DAE57A
	v_perm_b32 v114, v123, v114, s55                           // 0000000145BC: D1ED0072 00DEE57B
	v_perm_b32 v115, v125, v124, s53                           // 0000000145C4: D1ED0073 00D6F97D
	v_perm_b32 v115, v126, v115, s54                           // 0000000145CC: D1ED0073 00DAE77E
	v_perm_b32 v115, v127, v115, s55                           // 0000000145D4: D1ED0073 00DEE77F
	ds_write_b32 v10, v112 offset:25088                        // 0000000145DC: D81A6200 0000700A
	ds_write_b32 v10, v113 offset:26112                        // 0000000145E4: D81A6600 0000710A
	ds_write_b32 v10, v114 offset:27136                        // 0000000145EC: D81A6A00 0000720A
	ds_write_b32 v10, v115 offset:28160                        // 0000000145F4: D81A6E00 0000730A
	v_add_f32_e32 v208, v208, v176                             // 0000000145FC: 03A161D0
	v_add_f32_e32 v209, v209, v177                             // 000000014600: 03A363D1
	v_add_f32_e32 v210, v210, v178                             // 000000014604: 03A565D2
	v_add_f32_e32 v211, v211, v179                             // 000000014608: 03A767D3
	v_add_f32_e32 v212, v212, v180                             // 00000001460C: 03A969D4
	v_add_f32_e32 v213, v213, v181                             // 000000014610: 03AB6BD5
	v_add_f32_e32 v214, v214, v182                             // 000000014614: 03AD6DD6
	v_add_f32_e32 v215, v215, v183                             // 000000014618: 03AF6FD7
	v_rcp_f32_e32 v44, v48                                     // 00000001461C: 7E584530
	s_waitcnt lgkmcnt(0)                                       // 000000014620: BF8CC07F
	s_barrier                                                  // 000000014624: BF8A0000
	ds_read_b64 v[112:113], v9 offset:25088                    // 000000014628: D8EC6200 70000009
	ds_read_b64 v[114:115], v9 offset:25216                    // 000000014630: D8EC6280 72000009
	ds_read_b64 v[116:117], v9 offset:26112                    // 000000014638: D8EC6600 74000009
	ds_read_b64 v[118:119], v9 offset:26240                    // 000000014640: D8EC6680 76000009
	ds_read_b64 v[120:121], v9 offset:27136                    // 000000014648: D8EC6A00 78000009
	ds_read_b64 v[122:123], v9 offset:27264                    // 000000014650: D8EC6A80 7A000009
	ds_read_b64 v[124:125], v9 offset:28160                    // 000000014658: D8EC6E00 7C000009
	ds_read_b64 v[126:127], v9 offset:28288                    // 000000014660: D8EC6E80 7E000009
	v_mov_b32_dpp v64, v43 row_shr:4 row_mask:0xf bank_mask:0xf// 000000014668: 7E8002FA FF01142B
	v_mov_b32_dpp v65, v43 row_shl:4 row_mask:0xf bank_mask:0xf// 000000014670: 7E8202FA FF01042B
	v_cndmask_b32_e64 v248, v43, v64, s[44:45]                 // 000000014678: D10000F8 00B2812B
	v_cndmask_b32_e64 v249, v65, v43, s[44:45]                 // 000000014680: D10000F9 00B25741
	v_mov_b32_dpp v64, v248 row_shr:8 row_mask:0xf bank_mask:0xf// 000000014688: 7E8002FA FF0118F8
	v_mov_b32_dpp v65, v248 row_shl:8 row_mask:0xf bank_mask:0xf// 000000014690: 7E8202FA FF0108F8
	v_mov_b32_dpp v66, v249 row_shr:8 row_mask:0xf bank_mask:0xf// 000000014698: 7E8402FA FF0118F9
	v_mov_b32_dpp v67, v249 row_shl:8 row_mask:0xf bank_mask:0xf// 0000000146A0: 7E8602FA FF0108F9
	v_mov_b32_e32 v68, v248                                    // 0000000146A8: 7E8803F8
	v_mov_b32_e32 v69, v249                                    // 0000000146AC: 7E8A03F9
	v_cndmask_b32_e64 v248, v68, v64, s[42:43]                 // 0000000146B0: D10000F8 00AA8144
	v_cndmask_b32_e64 v250, v68, v65, s[78:79]                 // 0000000146B8: D10000FA 013A8344
	v_cndmask_b32_e64 v249, v69, v66, s[42:43]                 // 0000000146C0: D10000F9 00AA8545
	v_cndmask_b32_e64 v251, v69, v67, s[78:79]                 // 0000000146C8: D10000FB 013A8745
	v_mov_b32_dpp v64, v58 row_shr:4 row_mask:0xf bank_mask:0xf// 0000000146D0: 7E8002FA FF01143A
	v_mov_b32_dpp v65, v58 row_shl:4 row_mask:0xf bank_mask:0xf// 0000000146D8: 7E8202FA FF01043A
	v_cndmask_b32_e64 v252, v58, v64, s[44:45]                 // 0000000146E0: D10000FC 00B2813A
	v_cndmask_b32_e64 v253, v65, v58, s[44:45]                 // 0000000146E8: D10000FD 00B27541
	v_mov_b32_dpp v64, v252 row_shr:8 row_mask:0xf bank_mask:0xf// 0000000146F0: 7E8002FA FF0118FC
	v_mov_b32_dpp v65, v252 row_shl:8 row_mask:0xf bank_mask:0xf// 0000000146F8: 7E8202FA FF0108FC
	v_mov_b32_dpp v66, v253 row_shr:8 row_mask:0xf bank_mask:0xf// 000000014700: 7E8402FA FF0118FD
	v_mov_b32_dpp v67, v253 row_shl:8 row_mask:0xf bank_mask:0xf// 000000014708: 7E8602FA FF0108FD
	v_mov_b32_e32 v68, v252                                    // 000000014710: 7E8803FC
	v_mov_b32_e32 v69, v253                                    // 000000014714: 7E8A03FD
	v_cndmask_b32_e64 v252, v68, v64, s[42:43]                 // 000000014718: D10000FC 00AA8144
	v_cndmask_b32_e64 v254, v68, v65, s[78:79]                 // 000000014720: D10000FE 013A8344
	v_cndmask_b32_e64 v253, v69, v66, s[42:43]                 // 000000014728: D10000FD 00AA8545
	v_cndmask_b32_e64 v255, v69, v67, s[78:79]                 // 000000014730: D10000FF 013A8745
	v_cvt_f32_i32_e32 v128, v128                               // 000000014738: 7F000B80
	v_cvt_f32_i32_e32 v129, v129                               // 00000001473C: 7F020B81
	v_cvt_f32_i32_e32 v130, v130                               // 000000014740: 7F040B82
	v_cvt_f32_i32_e32 v131, v131                               // 000000014744: 7F060B83
	v_cvt_f32_i32_e32 v132, v132                               // 000000014748: 7F080B84
	v_cvt_f32_i32_e32 v133, v133                               // 00000001474C: 7F0A0B85
	v_cvt_f32_i32_e32 v134, v134                               // 000000014750: 7F0C0B86
	v_cvt_f32_i32_e32 v135, v135                               // 000000014754: 7F0E0B87
	v_cvt_f32_i32_e32 v136, v136                               // 000000014758: 7F100B88
	v_cvt_f32_i32_e32 v137, v137                               // 00000001475C: 7F120B89
	v_cvt_f32_i32_e32 v138, v138                               // 000000014760: 7F140B8A
	v_cvt_f32_i32_e32 v139, v139                               // 000000014764: 7F160B8B
	v_cvt_f32_i32_e32 v140, v140                               // 000000014768: 7F180B8C
	v_cvt_f32_i32_e32 v141, v141                               // 00000001476C: 7F1A0B8D
	v_cvt_f32_i32_e32 v142, v142                               // 000000014770: 7F1C0B8E
	v_cvt_f32_i32_e32 v143, v143                               // 000000014774: 7F1E0B8F
	v_mul_f32_e32 v128, v19, v128                              // 000000014778: 0B010113
	v_mul_f32_e32 v129, v19, v129                              // 00000001477C: 0B030313
	v_mul_f32_e32 v130, v19, v130                              // 000000014780: 0B050513
	v_mul_f32_e32 v131, v19, v131                              // 000000014784: 0B070713
	v_mul_f32_e32 v132, v19, v132                              // 000000014788: 0B090913
	v_mul_f32_e32 v133, v19, v133                              // 00000001478C: 0B0B0B13
	v_mul_f32_e32 v134, v19, v134                              // 000000014790: 0B0D0D13
	v_mul_f32_e32 v135, v19, v135                              // 000000014794: 0B0F0F13
	v_mul_f32_e32 v136, v19, v136                              // 000000014798: 0B111113
	v_mul_f32_e32 v137, v19, v137                              // 00000001479C: 0B131313
	v_mul_f32_e32 v138, v19, v138                              // 0000000147A0: 0B151513
	v_mul_f32_e32 v139, v19, v139                              // 0000000147A4: 0B171713
	v_mul_f32_e32 v140, v19, v140                              // 0000000147A8: 0B191913
	v_mul_f32_e32 v141, v19, v141                              // 0000000147AC: 0B1B1B13
	v_mul_f32_e32 v142, v19, v142                              // 0000000147B0: 0B1D1D13
	v_mul_f32_e32 v143, v19, v143                              // 0000000147B4: 0B1F1F13
	v_mul_f32_dpp v128, v248, v128 quad_perm:[0,0,0,0] row_mask:0xf bank_mask:0xf// 0000000147B8: 0B0100FA FF0000F8
	v_mul_f32_dpp v129, v248, v129 quad_perm:[1,1,1,1] row_mask:0xf bank_mask:0xf// 0000000147C0: 0B0302FA FF0055F8
	v_mul_f32_dpp v130, v248, v130 quad_perm:[2,2,2,2] row_mask:0xf bank_mask:0xf// 0000000147C8: 0B0504FA FF00AAF8
	v_mul_f32_dpp v131, v248, v131 quad_perm:[3,3,3,3] row_mask:0xf bank_mask:0xf// 0000000147D0: 0B0706FA FF00FFF8
	v_mul_f32_dpp v132, v249, v132 quad_perm:[0,0,0,0] row_mask:0xf bank_mask:0xf// 0000000147D8: 0B0908FA FF0000F9
	v_mul_f32_dpp v133, v249, v133 quad_perm:[1,1,1,1] row_mask:0xf bank_mask:0xf// 0000000147E0: 0B0B0AFA FF0055F9
	v_mul_f32_dpp v134, v249, v134 quad_perm:[2,2,2,2] row_mask:0xf bank_mask:0xf// 0000000147E8: 0B0D0CFA FF00AAF9
	v_mul_f32_dpp v135, v249, v135 quad_perm:[3,3,3,3] row_mask:0xf bank_mask:0xf// 0000000147F0: 0B0F0EFA FF00FFF9
	v_mul_f32_dpp v136, v250, v136 quad_perm:[0,0,0,0] row_mask:0xf bank_mask:0xf// 0000000147F8: 0B1110FA FF0000FA
	v_mul_f32_dpp v137, v250, v137 quad_perm:[1,1,1,1] row_mask:0xf bank_mask:0xf// 000000014800: 0B1312FA FF0055FA
	v_mul_f32_dpp v138, v250, v138 quad_perm:[2,2,2,2] row_mask:0xf bank_mask:0xf// 000000014808: 0B1514FA FF00AAFA
	v_mul_f32_dpp v139, v250, v139 quad_perm:[3,3,3,3] row_mask:0xf bank_mask:0xf// 000000014810: 0B1716FA FF00FFFA
	v_mul_f32_dpp v140, v251, v140 quad_perm:[0,0,0,0] row_mask:0xf bank_mask:0xf// 000000014818: 0B1918FA FF0000FB
	v_mul_f32_dpp v141, v251, v141 quad_perm:[1,1,1,1] row_mask:0xf bank_mask:0xf// 000000014820: 0B1B1AFA FF0055FB
	v_mul_f32_dpp v142, v251, v142 quad_perm:[2,2,2,2] row_mask:0xf bank_mask:0xf// 000000014828: 0B1D1CFA FF00AAFB
	v_mul_f32_dpp v143, v251, v143 quad_perm:[3,3,3,3] row_mask:0xf bank_mask:0xf// 000000014830: 0B1F1EFA FF00FFFB
	s_cmp_le_i32 s90, s89                                      // 000000014838: BF05595A
	s_cbranch_scc1 label_4A01                                  // 00000001483C: BF850071
	v_mov_b32_e32 v66, 0xff800000                              // 000000014840: 7E8402FF FF800000
	s_mov_b32 s60, s90                                         // 000000014848: BEBC005A
	s_add_u32 s61, s89, 0xff                                   // 00000001484C: 803DFF59 000000FF
	v_mov_b32_e32 v64, s61                                     // 000000014854: 7E80023D
	v_lshrrev_b32_e32 v240, 4, v0                              // 000000014858: 21E00084
	v_mul_i32_i24_e32 v240, 4, v240                            // 00000001485C: 0DE1E084
	v_add_u32_e32 v240, s60, v240                              // 000000014860: 69E1E03C
	s_mov_b32 s61, 1                                           // 000000014864: BEBD0081
	s_mul_i32 s60, 16, s7                                      // 000000014868: 923C0790
	v_sub_u32_e64 v240, v240, s61                              // 00000001486C: D13500F0 00007BF0
	v_add_u32_e32 v240, s60, v240                              // 000000014874: 69E1E03C
	v_add_u32_e32 v241, 1, v240                                // 000000014878: 69E3E081
	v_add_u32_e32 v242, 2, v240                                // 00000001487C: 69E5E082
	v_add_u32_e32 v243, 3, v240                                // 000000014880: 69E7E083
	v_cmp_le_u32_e64 s[40:41], v240, v64                       // 000000014884: D0CB0028 000281F0
	v_add_u32_e32 v240, 64, v240                               // 00000001488C: 69E1E0C0
	s_nop 0                                                    // 000000014890: BF800000
	v_cndmask_b32_e64 v128, v66, v128, s[40:41]                // 000000014894: D1000080 00A30142
	v_cmp_le_u32_e64 s[40:41], v241, v64                       // 00000001489C: D0CB0028 000281F1
	v_add_u32_e32 v241, 64, v241                               // 0000000148A4: 69E3E2C0
	s_nop 0                                                    // 0000000148A8: BF800000
	v_cndmask_b32_e64 v129, v66, v129, s[40:41]                // 0000000148AC: D1000081 00A30342
	v_cmp_le_u32_e64 s[40:41], v242, v64                       // 0000000148B4: D0CB0028 000281F2
	v_add_u32_e32 v242, 64, v242                               // 0000000148BC: 69E5E4C0
	s_nop 0                                                    // 0000000148C0: BF800000
	v_cndmask_b32_e64 v130, v66, v130, s[40:41]                // 0000000148C4: D1000082 00A30542
	v_cmp_le_u32_e64 s[40:41], v243, v64                       // 0000000148CC: D0CB0028 000281F3
	v_add_u32_e32 v243, 64, v243                               // 0000000148D4: 69E7E6C0
	s_nop 0                                                    // 0000000148D8: BF800000
	v_cndmask_b32_e64 v131, v66, v131, s[40:41]                // 0000000148DC: D1000083 00A30742
	v_cmp_le_u32_e64 s[40:41], v240, v64                       // 0000000148E4: D0CB0028 000281F0
	v_add_u32_e32 v240, 64, v240                               // 0000000148EC: 69E1E0C0
	s_nop 0                                                    // 0000000148F0: BF800000
	v_cndmask_b32_e64 v132, v66, v132, s[40:41]                // 0000000148F4: D1000084 00A30942
	v_cmp_le_u32_e64 s[40:41], v241, v64                       // 0000000148FC: D0CB0028 000281F1
	v_add_u32_e32 v241, 64, v241                               // 000000014904: 69E3E2C0
	s_nop 0                                                    // 000000014908: BF800000
	v_cndmask_b32_e64 v133, v66, v133, s[40:41]                // 00000001490C: D1000085 00A30B42
	v_cmp_le_u32_e64 s[40:41], v242, v64                       // 000000014914: D0CB0028 000281F2
	v_add_u32_e32 v242, 64, v242                               // 00000001491C: 69E5E4C0
	s_nop 0                                                    // 000000014920: BF800000
	v_cndmask_b32_e64 v134, v66, v134, s[40:41]                // 000000014924: D1000086 00A30D42
	v_cmp_le_u32_e64 s[40:41], v243, v64                       // 00000001492C: D0CB0028 000281F3
	v_add_u32_e32 v243, 64, v243                               // 000000014934: 69E7E6C0
	s_nop 0                                                    // 000000014938: BF800000
	v_cndmask_b32_e64 v135, v66, v135, s[40:41]                // 00000001493C: D1000087 00A30F42
	v_cmp_le_u32_e64 s[40:41], v240, v64                       // 000000014944: D0CB0028 000281F0
	v_add_u32_e32 v240, 64, v240                               // 00000001494C: 69E1E0C0
	s_nop 0                                                    // 000000014950: BF800000
	v_cndmask_b32_e64 v136, v66, v136, s[40:41]                // 000000014954: D1000088 00A31142
	v_cmp_le_u32_e64 s[40:41], v241, v64                       // 00000001495C: D0CB0028 000281F1
	v_add_u32_e32 v241, 64, v241                               // 000000014964: 69E3E2C0
	s_nop 0                                                    // 000000014968: BF800000
	v_cndmask_b32_e64 v137, v66, v137, s[40:41]                // 00000001496C: D1000089 00A31342
	v_cmp_le_u32_e64 s[40:41], v242, v64                       // 000000014974: D0CB0028 000281F2
	v_add_u32_e32 v242, 64, v242                               // 00000001497C: 69E5E4C0
	s_nop 0                                                    // 000000014980: BF800000
	v_cndmask_b32_e64 v138, v66, v138, s[40:41]                // 000000014984: D100008A 00A31542
	v_cmp_le_u32_e64 s[40:41], v243, v64                       // 00000001498C: D0CB0028 000281F3
	v_add_u32_e32 v243, 64, v243                               // 000000014994: 69E7E6C0
	s_nop 0                                                    // 000000014998: BF800000
	v_cndmask_b32_e64 v139, v66, v139, s[40:41]                // 00000001499C: D100008B 00A31742
	v_cmp_le_u32_e64 s[40:41], v240, v64                       // 0000000149A4: D0CB0028 000281F0
	v_add_u32_e32 v240, 64, v240                               // 0000000149AC: 69E1E0C0
	s_nop 0                                                    // 0000000149B0: BF800000
	v_cndmask_b32_e64 v140, v66, v140, s[40:41]                // 0000000149B4: D100008C 00A31942
	v_cmp_le_u32_e64 s[40:41], v241, v64                       // 0000000149BC: D0CB0028 000281F1
	v_add_u32_e32 v241, 64, v241                               // 0000000149C4: 69E3E2C0
	s_nop 0                                                    // 0000000149C8: BF800000
	v_cndmask_b32_e64 v141, v66, v141, s[40:41]                // 0000000149CC: D100008D 00A31B42
	v_cmp_le_u32_e64 s[40:41], v242, v64                       // 0000000149D4: D0CB0028 000281F2
	v_add_u32_e32 v242, 64, v242                               // 0000000149DC: 69E5E4C0
	s_nop 0                                                    // 0000000149E0: BF800000
	v_cndmask_b32_e64 v142, v66, v142, s[40:41]                // 0000000149E4: D100008E 00A31D42
	v_cmp_le_u32_e64 s[40:41], v243, v64                       // 0000000149EC: D0CB0028 000281F3
	v_add_u32_e32 v243, 64, v243                               // 0000000149F4: 69E7E6C0
	s_nop 0                                                    // 0000000149F8: BF800000
	v_cndmask_b32_e64 v143, v66, v143, s[40:41]                // 0000000149FC: D100008F 00A31F42

0000000000014a04 <label_4A01>:
	v_mov_b32_e32 v48, v128                                    // 000000014A04: 7E600380
	v_max3_f32 v48, v128, v129, v48                            // 000000014A08: D1D30030 04C30380
	v_max3_f32 v48, v130, v131, v48                            // 000000014A10: D1D30030 04C30782
	v_max3_f32 v48, v132, v133, v48                            // 000000014A18: D1D30030 04C30B84
	v_max3_f32 v48, v134, v135, v48                            // 000000014A20: D1D30030 04C30F86
	v_max3_f32 v48, v136, v137, v48                            // 000000014A28: D1D30030 04C31388
	v_max3_f32 v48, v138, v139, v48                            // 000000014A30: D1D30030 04C3178A
	v_max3_f32 v48, v140, v141, v48                            // 000000014A38: D1D30030 04C31B8C
	v_max3_f32 v48, v142, v143, v48                            // 000000014A40: D1D30030 04C31F8E
	ds_write_b32 v8, v48 offset:16896                          // 000000014A48: D81A4200 00003008
	v_mul_f32_e32 v216, v50, v216                              // 000000014A50: 0BB1B132
	v_mul_f32_e32 v217, v50, v217                              // 000000014A54: 0BB3B332
	v_mul_f32_e32 v218, v50, v218                              // 000000014A58: 0BB5B532
	v_mul_f32_e32 v219, v50, v219                              // 000000014A5C: 0BB7B732
	v_mul_f32_e32 v220, v50, v220                              // 000000014A60: 0BB9B932
	v_mul_f32_e32 v221, v50, v221                              // 000000014A64: 0BBBBB32
	v_mul_f32_e32 v222, v50, v222                              // 000000014A68: 0BBDBD32
	v_mul_f32_e32 v223, v50, v223                              // 000000014A6C: 0BBFBF32
	s_waitcnt lgkmcnt(0)                                       // 000000014A70: BF8CC07F
	s_barrier                                                  // 000000014A74: BF8A0000
	ds_read_b32 v64, v7 offset:16896                           // 000000014A78: D86C4200 40000007
	ds_read_b32 v65, v7 offset:16960                           // 000000014A80: D86C4240 41000007
	ds_read_b32 v66, v7 offset:17024                           // 000000014A88: D86C4280 42000007
	ds_read_b32 v67, v7 offset:17088                           // 000000014A90: D86C42C0 43000007
	ds_read_b32 v68, v7 offset:17152                           // 000000014A98: D86C4300 44000007
	ds_read_b32 v69, v7 offset:17216                           // 000000014AA0: D86C4340 45000007
	ds_read_b32 v70, v7 offset:17280                           // 000000014AA8: D86C4380 46000007
	ds_read_b32 v71, v7 offset:17344                           // 000000014AB0: D86C43C0 47000007
	ds_read_b32 v72, v7 offset:17408                           // 000000014AB8: D86C4400 48000007
	ds_read_b32 v73, v7 offset:17472                           // 000000014AC0: D86C4440 49000007
	ds_read_b32 v74, v7 offset:17536                           // 000000014AC8: D86C4480 4A000007
	ds_read_b32 v75, v7 offset:17600                           // 000000014AD0: D86C44C0 4B000007
	ds_read_b32 v76, v7 offset:17664                           // 000000014AD8: D86C4500 4C000007
	ds_read_b32 v77, v7 offset:17728                           // 000000014AE0: D86C4540 4D000007
	ds_read_b32 v78, v7 offset:17792                           // 000000014AE8: D86C4580 4E000007
	ds_read_b32 v79, v7 offset:17856                           // 000000014AF0: D86C45C0 4F000007
	v_cvt_f32_i32_e32 v184, v184                               // 000000014AF8: 7F700BB8
	v_cvt_f32_i32_e32 v185, v185                               // 000000014AFC: 7F720BB9
	v_cvt_f32_i32_e32 v186, v186                               // 000000014B00: 7F740BBA
	v_cvt_f32_i32_e32 v187, v187                               // 000000014B04: 7F760BBB
	v_cvt_f32_i32_e32 v188, v188                               // 000000014B08: 7F780BBC
	v_cvt_f32_i32_e32 v189, v189                               // 000000014B0C: 7F7A0BBD
	v_cvt_f32_i32_e32 v190, v190                               // 000000014B10: 7F7C0BBE
	v_cvt_f32_i32_e32 v191, v191                               // 000000014B14: 7F7E0BBF
	v_mul_f32_e32 v184, v45, v184                              // 000000014B18: 0B71712D
	v_mul_f32_e32 v185, v45, v185                              // 000000014B1C: 0B73732D
	v_mul_f32_e32 v186, v45, v186                              // 000000014B20: 0B75752D
	v_mul_f32_e32 v187, v45, v187                              // 000000014B24: 0B77772D
	v_mul_f32_e32 v188, v45, v188                              // 000000014B28: 0B79792D
	v_mul_f32_e32 v189, v45, v189                              // 000000014B2C: 0B7B7B2D
	v_mul_f32_e32 v190, v45, v190                              // 000000014B30: 0B7D7D2D
	v_mul_f32_e32 v191, v45, v191                              // 000000014B34: 0B7F7F2D
	s_waitcnt lgkmcnt(0)                                       // 000000014B38: BF8CC07F
	v_max3_f32 v48, v64, v65, v48                              // 000000014B3C: D1D30030 04C28340
	v_max3_f32 v48, v66, v67, v48                              // 000000014B44: D1D30030 04C28742
	v_max3_f32 v48, v68, v69, v48                              // 000000014B4C: D1D30030 04C28B44
	v_max3_f32 v48, v70, v71, v48                              // 000000014B54: D1D30030 04C28F46
	v_max3_f32 v48, v72, v73, v48                              // 000000014B5C: D1D30030 04C29348
	v_max3_f32 v48, v74, v75, v48                              // 000000014B64: D1D30030 04C2974A
	v_max3_f32 v48, v76, v77, v48                              // 000000014B6C: D1D30030 04C29B4C
	v_max3_f32 v48, v78, v79, v48                              // 000000014B74: D1D30030 04C29F4E
	v_mov_b32_e32 v64, 0xff800000                              // 000000014B7C: 7E8002FF FF800000
	v_cmp_eq_u32_e64 s[40:41], v64, v12                        // 000000014B84: D0CA0028 00021940
	s_nop 1                                                    // 000000014B8C: BF800001
	v_max_f32_e32 v15, v48, v12                                // 000000014B90: 161E1930
	v_mul_f32_e32 v53, s64, v15                                // 000000014B94: 0A6A1E40
	v_fma_f32 v128, v128, s64, -v53                            // 000000014B98: D1CB0080 84D48180
	v_fma_f32 v129, v129, s64, -v53                            // 000000014BA0: D1CB0081 84D48181
	v_fma_f32 v130, v130, s64, -v53                            // 000000014BA8: D1CB0082 84D48182
	v_fma_f32 v131, v131, s64, -v53                            // 000000014BB0: D1CB0083 84D48183
	v_fma_f32 v132, v132, s64, -v53                            // 000000014BB8: D1CB0084 84D48184
	v_fma_f32 v133, v133, s64, -v53                            // 000000014BC0: D1CB0085 84D48185
	v_fma_f32 v134, v134, s64, -v53                            // 000000014BC8: D1CB0086 84D48186
	v_fma_f32 v135, v135, s64, -v53                            // 000000014BD0: D1CB0087 84D48187
	v_fma_f32 v136, v136, s64, -v53                            // 000000014BD8: D1CB0088 84D48188
	v_fma_f32 v137, v137, s64, -v53                            // 000000014BE0: D1CB0089 84D48189
	v_fma_f32 v138, v138, s64, -v53                            // 000000014BE8: D1CB008A 84D4818A
	v_fma_f32 v139, v139, s64, -v53                            // 000000014BF0: D1CB008B 84D4818B
	v_fma_f32 v140, v140, s64, -v53                            // 000000014BF8: D1CB008C 84D4818C
	v_fma_f32 v141, v141, s64, -v53                            // 000000014C00: D1CB008D 84D4818D
	v_fma_f32 v142, v142, s64, -v53                            // 000000014C08: D1CB008E 84D4818E
	v_fma_f32 v143, v143, s64, -v53                            // 000000014C10: D1CB008F 84D4818F
	v_exp_f32_e32 v128, v128                                   // 000000014C18: 7F004180
	v_exp_f32_e32 v129, v129                                   // 000000014C1C: 7F024181
	v_exp_f32_e32 v130, v130                                   // 000000014C20: 7F044182
	v_exp_f32_e32 v131, v131                                   // 000000014C24: 7F064183
	v_exp_f32_e32 v132, v132                                   // 000000014C28: 7F084184
	v_exp_f32_e32 v133, v133                                   // 000000014C2C: 7F0A4185
	v_exp_f32_e32 v134, v134                                   // 000000014C30: 7F0C4186
	v_exp_f32_e32 v135, v135                                   // 000000014C34: 7F0E4187
	v_exp_f32_e32 v136, v136                                   // 000000014C38: 7F104188
	v_exp_f32_e32 v137, v137                                   // 000000014C3C: 7F124189
	v_exp_f32_e32 v138, v138                                   // 000000014C40: 7F14418A
	v_exp_f32_e32 v139, v139                                   // 000000014C44: 7F16418B
	v_exp_f32_e32 v140, v140                                   // 000000014C48: 7F18418C
	v_exp_f32_e32 v141, v141                                   // 000000014C4C: 7F1A418D
	v_exp_f32_e32 v142, v142                                   // 000000014C50: 7F1C418E
	v_exp_f32_e32 v143, v143                                   // 000000014C54: 7F1E418F
	v_mul_f32_dpp v240, v252, v128 quad_perm:[0,0,0,0] row_mask:0xf bank_mask:0xf// 000000014C58: 0BE100FA FF0000FC
	v_mul_f32_dpp v241, v252, v129 quad_perm:[1,1,1,1] row_mask:0xf bank_mask:0xf// 000000014C60: 0BE302FA FF0055FC
	v_mul_f32_dpp v242, v252, v130 quad_perm:[2,2,2,2] row_mask:0xf bank_mask:0xf// 000000014C68: 0BE504FA FF00AAFC
	v_mul_f32_dpp v243, v252, v131 quad_perm:[3,3,3,3] row_mask:0xf bank_mask:0xf// 000000014C70: 0BE706FA FF00FFFC
	v_mul_f32_dpp v244, v253, v132 quad_perm:[0,0,0,0] row_mask:0xf bank_mask:0xf// 000000014C78: 0BE908FA FF0000FD
	v_mul_f32_dpp v245, v253, v133 quad_perm:[1,1,1,1] row_mask:0xf bank_mask:0xf// 000000014C80: 0BEB0AFA FF0055FD
	v_mul_f32_dpp v246, v253, v134 quad_perm:[2,2,2,2] row_mask:0xf bank_mask:0xf// 000000014C88: 0BED0CFA FF00AAFD
	v_mul_f32_dpp v247, v253, v135 quad_perm:[3,3,3,3] row_mask:0xf bank_mask:0xf// 000000014C90: 0BEF0EFA FF00FFFD
	v_mul_f32_dpp v248, v254, v136 quad_perm:[0,0,0,0] row_mask:0xf bank_mask:0xf// 000000014C98: 0BF110FA FF0000FE
	v_mul_f32_dpp v249, v254, v137 quad_perm:[1,1,1,1] row_mask:0xf bank_mask:0xf// 000000014CA0: 0BF312FA FF0055FE
	v_mul_f32_dpp v250, v254, v138 quad_perm:[2,2,2,2] row_mask:0xf bank_mask:0xf// 000000014CA8: 0BF514FA FF00AAFE
	v_mul_f32_dpp v251, v254, v139 quad_perm:[3,3,3,3] row_mask:0xf bank_mask:0xf// 000000014CB0: 0BF716FA FF00FFFE
	v_mul_f32_dpp v252, v255, v140 quad_perm:[0,0,0,0] row_mask:0xf bank_mask:0xf// 000000014CB8: 0BF918FA FF0000FF
	v_mul_f32_dpp v253, v255, v141 quad_perm:[1,1,1,1] row_mask:0xf bank_mask:0xf// 000000014CC0: 0BFB1AFA FF0055FF
	v_mul_f32_dpp v254, v255, v142 quad_perm:[2,2,2,2] row_mask:0xf bank_mask:0xf// 000000014CC8: 0BFD1CFA FF00AAFF
	v_mul_f32_dpp v255, v255, v143 quad_perm:[3,3,3,3] row_mask:0xf bank_mask:0xf// 000000014CD0: 0BFF1EFA FF00FFFF
	v_mov_b32_e32 v48, 0x358637bd                              // 000000014CD8: 7E6002FF 358637BD
	v_max3_f32 v48, |v240|, |v241|, v48                        // 000000014CE0: D1D30330 04C3E3F0
	v_max3_f32 v48, |v242|, |v243|, v48                        // 000000014CE8: D1D30330 04C3E7F2
	v_max3_f32 v48, |v244|, |v245|, v48                        // 000000014CF0: D1D30330 04C3EBF4
	v_max3_f32 v48, |v246|, |v247|, v48                        // 000000014CF8: D1D30330 04C3EFF6
	v_max3_f32 v48, |v248|, |v249|, v48                        // 000000014D00: D1D30330 04C3F3F8
	v_max3_f32 v48, |v250|, |v251|, v48                        // 000000014D08: D1D30330 04C3F7FA
	v_max3_f32 v48, |v252|, |v253|, v48                        // 000000014D10: D1D30330 04C3FBFC
	v_max3_f32 v48, |v254|, |v255|, v48                        // 000000014D18: D1D30330 04C3FFFE
	ds_write_b32 v8, v48 offset:20992                          // 000000014D20: D81A5200 00003008
	v_sub_f32_e32 v50, v12, v15                                // 000000014D28: 04641F0C
	v_cndmask_b32_e64 v50, v50, 0, s[40:41]                    // 000000014D2C: D1000032 00A10132
	v_mov_b32_e32 v12, v15                                     // 000000014D34: 7E18030F
	v_mul_f32_e32 v50, s64, v50                                // 000000014D38: 0A646440
	v_exp_f32_e32 v50, v50                                     // 000000014D3C: 7E644132
	s_waitcnt lgkmcnt(0)                                       // 000000014D40: BF8CC07F
	s_barrier                                                  // 000000014D44: BF8A0000
	ds_read_b32 v64, v7 offset:20992                           // 000000014D48: D86C5200 40000007
	ds_read_b32 v65, v7 offset:21056                           // 000000014D50: D86C5240 41000007
	ds_read_b32 v66, v7 offset:21120                           // 000000014D58: D86C5280 42000007
	ds_read_b32 v67, v7 offset:21184                           // 000000014D60: D86C52C0 43000007
	ds_read_b32 v68, v7 offset:21248                           // 000000014D68: D86C5300 44000007
	ds_read_b32 v69, v7 offset:21312                           // 000000014D70: D86C5340 45000007
	ds_read_b32 v70, v7 offset:21376                           // 000000014D78: D86C5380 46000007
	ds_read_b32 v71, v7 offset:21440                           // 000000014D80: D86C53C0 47000007
	ds_read_b32 v72, v7 offset:21504                           // 000000014D88: D86C5400 48000007
	ds_read_b32 v73, v7 offset:21568                           // 000000014D90: D86C5440 49000007
	ds_read_b32 v74, v7 offset:21632                           // 000000014D98: D86C5480 4A000007
	ds_read_b32 v75, v7 offset:21696                           // 000000014DA0: D86C54C0 4B000007
	ds_read_b32 v76, v7 offset:21760                           // 000000014DA8: D86C5500 4C000007
	ds_read_b32 v77, v7 offset:21824                           // 000000014DB0: D86C5540 4D000007
	ds_read_b32 v78, v7 offset:21888                           // 000000014DB8: D86C5580 4E000007
	ds_read_b32 v79, v7 offset:21952                           // 000000014DC0: D86C55C0 4F000007
	v_mul_f32_e32 v39, v50, v39                                // 000000014DC8: 0A4E4F32
	v_mov_b32_e32 v15, v128                                    // 000000014DCC: 7E1E0380
	v_add_f32_e32 v15, v129, v15                               // 000000014DD0: 021E1F81
	v_add_f32_e32 v15, v130, v15                               // 000000014DD4: 021E1F82
	v_add_f32_e32 v15, v131, v15                               // 000000014DD8: 021E1F83
	v_add_f32_e32 v15, v132, v15                               // 000000014DDC: 021E1F84
	v_add_f32_e32 v15, v133, v15                               // 000000014DE0: 021E1F85
	v_add_f32_e32 v15, v134, v15                               // 000000014DE4: 021E1F86
	v_add_f32_e32 v15, v135, v15                               // 000000014DE8: 021E1F87
	v_add_f32_e32 v15, v136, v15                               // 000000014DEC: 021E1F88
	v_add_f32_e32 v15, v137, v15                               // 000000014DF0: 021E1F89
	v_add_f32_e32 v15, v138, v15                               // 000000014DF4: 021E1F8A
	v_add_f32_e32 v15, v139, v15                               // 000000014DF8: 021E1F8B
	v_add_f32_e32 v15, v140, v15                               // 000000014DFC: 021E1F8C
	v_add_f32_e32 v15, v141, v15                               // 000000014E00: 021E1F8D
	v_add_f32_e32 v15, v142, v15                               // 000000014E04: 021E1F8E
	v_add_f32_e32 v15, v143, v15                               // 000000014E08: 021E1F8F
	v_add_f32_e32 v39, v15, v39                                // 000000014E0C: 024E4F0F
	s_waitcnt lgkmcnt(0)                                       // 000000014E10: BF8CC07F
	v_max3_f32 v48, |v64|, |v65|, v48                          // 000000014E14: D1D30330 04C28340
	v_max3_f32 v48, |v66|, |v67|, v48                          // 000000014E1C: D1D30330 04C28742
	v_max3_f32 v48, |v68|, |v69|, v48                          // 000000014E24: D1D30330 04C28B44
	v_max3_f32 v48, |v70|, |v71|, v48                          // 000000014E2C: D1D30330 04C28F46
	v_max3_f32 v48, |v72|, |v73|, v48                          // 000000014E34: D1D30330 04C29348
	v_max3_f32 v48, |v74|, |v75|, v48                          // 000000014E3C: D1D30330 04C2974A
	v_max3_f32 v48, |v76|, |v77|, v48                          // 000000014E44: D1D30330 04C29B4C
	v_max3_f32 v48, |v78|, |v79|, v48                          // 000000014E4C: D1D30330 04C29F4E
	s_nop 2                                                    // 000000014E54: BF800002
	v_rcp_f32_e32 v48, v48                                     // 000000014E58: 7E604530
	s_nop 1                                                    // 000000014E5C: BF800001
	v_mul_f32_e32 v48, 0x42fe0000, v48                         // 000000014E60: 0A6060FF 42FE0000
	v_mul_f32_e32 v128, v48, v240                              // 000000014E68: 0B01E130
	v_mul_f32_e32 v129, v48, v241                              // 000000014E6C: 0B03E330
	v_mul_f32_e32 v130, v48, v242                              // 000000014E70: 0B05E530
	v_mul_f32_e32 v131, v48, v243                              // 000000014E74: 0B07E730
	v_mul_f32_e32 v132, v48, v244                              // 000000014E78: 0B09E930
	v_mul_f32_e32 v133, v48, v245                              // 000000014E7C: 0B0BEB30
	v_mul_f32_e32 v134, v48, v246                              // 000000014E80: 0B0DED30
	v_mul_f32_e32 v135, v48, v247                              // 000000014E84: 0B0FEF30
	v_mul_f32_e32 v136, v48, v248                              // 000000014E88: 0B11F130
	v_mul_f32_e32 v137, v48, v249                              // 000000014E8C: 0B13F330
	v_mul_f32_e32 v138, v48, v250                              // 000000014E90: 0B15F530
	v_mul_f32_e32 v139, v48, v251                              // 000000014E94: 0B17F730
	v_mul_f32_e32 v140, v48, v252                              // 000000014E98: 0B19F930
	v_mul_f32_e32 v141, v48, v253                              // 000000014E9C: 0B1BFB30
	v_mul_f32_e32 v142, v48, v254                              // 000000014EA0: 0B1DFD30
	v_mul_f32_e32 v143, v48, v255                              // 000000014EA4: 0B1FFF30
	v_cvt_i32_f32_e32 v128, v128                               // 000000014EA8: 7F001180
	v_cvt_i32_f32_e32 v129, v129                               // 000000014EAC: 7F021181
	v_cvt_i32_f32_e32 v130, v130                               // 000000014EB0: 7F041182
	v_cvt_i32_f32_e32 v131, v131                               // 000000014EB4: 7F061183
	v_cvt_i32_f32_e32 v132, v132                               // 000000014EB8: 7F081184
	v_cvt_i32_f32_e32 v133, v133                               // 000000014EBC: 7F0A1185
	v_cvt_i32_f32_e32 v134, v134                               // 000000014EC0: 7F0C1186
	v_cvt_i32_f32_e32 v135, v135                               // 000000014EC4: 7F0E1187
	v_cvt_i32_f32_e32 v136, v136                               // 000000014EC8: 7F101188
	v_cvt_i32_f32_e32 v137, v137                               // 000000014ECC: 7F121189
	v_cvt_i32_f32_e32 v138, v138                               // 000000014ED0: 7F14118A
	v_cvt_i32_f32_e32 v139, v139                               // 000000014ED4: 7F16118B
	v_cvt_i32_f32_e32 v140, v140                               // 000000014ED8: 7F18118C
	v_cvt_i32_f32_e32 v141, v141                               // 000000014EDC: 7F1A118D
	v_cvt_i32_f32_e32 v142, v142                               // 000000014EE0: 7F1C118E
	v_cvt_i32_f32_e32 v143, v143                               // 000000014EE4: 7F1E118F
	v_perm_b32 v128, v129, v128, s53                           // 000000014EE8: D1ED0080 00D70181
	v_perm_b32 v128, v130, v128, s54                           // 000000014EF0: D1ED0080 00DB0182
	v_perm_b32 v128, v131, v128, s55                           // 000000014EF8: D1ED0080 00DF0183
	v_perm_b32 v129, v133, v132, s53                           // 000000014F00: D1ED0081 00D70985
	v_perm_b32 v129, v134, v129, s54                           // 000000014F08: D1ED0081 00DB0386
	v_perm_b32 v129, v135, v129, s55                           // 000000014F10: D1ED0081 00DF0387
	v_perm_b32 v130, v137, v136, s53                           // 000000014F18: D1ED0082 00D71189
	v_perm_b32 v130, v138, v130, s54                           // 000000014F20: D1ED0082 00DB058A
	v_perm_b32 v130, v139, v130, s55                           // 000000014F28: D1ED0082 00DF058B
	v_perm_b32 v131, v141, v140, s53                           // 000000014F30: D1ED0083 00D7198D
	v_perm_b32 v131, v142, v131, s54                           // 000000014F38: D1ED0083 00DB078E
	v_perm_b32 v131, v143, v131, s55                           // 000000014F40: D1ED0083 00DF078F
	ds_write_b32 v10, v128 offset:29184                        // 000000014F48: D81A7200 0000800A
	ds_write_b32 v10, v129 offset:30208                        // 000000014F50: D81A7600 0000810A
	ds_write_b32 v10, v130 offset:31232                        // 000000014F58: D81A7A00 0000820A
	ds_write_b32 v10, v131 offset:32256                        // 000000014F60: D81A7E00 0000830A
	v_add_f32_e32 v216, v216, v184                             // 000000014F68: 03B171D8
	v_add_f32_e32 v217, v217, v185                             // 000000014F6C: 03B373D9
	v_add_f32_e32 v218, v218, v186                             // 000000014F70: 03B575DA
	v_add_f32_e32 v219, v219, v187                             // 000000014F74: 03B777DB
	v_add_f32_e32 v220, v220, v188                             // 000000014F78: 03B979DC
	v_add_f32_e32 v221, v221, v189                             // 000000014F7C: 03BB7BDD
	v_add_f32_e32 v222, v222, v190                             // 000000014F80: 03BD7DDE
	v_add_f32_e32 v223, v223, v191                             // 000000014F84: 03BF7FDF
	v_rcp_f32_e32 v45, v48                                     // 000000014F88: 7E5A4530
	s_waitcnt lgkmcnt(0)                                       // 000000014F8C: BF8CC07F
	s_barrier                                                  // 000000014F90: BF8A0000
	ds_read_b64 v[128:129], v9 offset:29184                    // 000000014F94: D8EC7200 80000009
	ds_read_b64 v[130:131], v9 offset:29312                    // 000000014F9C: D8EC7280 82000009
	ds_read_b64 v[132:133], v9 offset:30208                    // 000000014FA4: D8EC7600 84000009
	ds_read_b64 v[134:135], v9 offset:30336                    // 000000014FAC: D8EC7680 86000009
	ds_read_b64 v[136:137], v9 offset:31232                    // 000000014FB4: D8EC7A00 88000009
	ds_read_b64 v[138:139], v9 offset:31360                    // 000000014FBC: D8EC7A80 8A000009
	ds_read_b64 v[140:141], v9 offset:32256                    // 000000014FC4: D8EC7E00 8C000009
	ds_read_b64 v[142:143], v9 offset:32384                    // 000000014FCC: D8EC7E80 8E000009
	v_mov_b32_dpp v64, v43 row_shr:4 row_mask:0xf bank_mask:0xf// 000000014FD4: 7E8002FA FF01142B
	v_mov_b32_dpp v65, v43 row_shl:4 row_mask:0xf bank_mask:0xf// 000000014FDC: 7E8202FA FF01042B
	v_cndmask_b32_e64 v248, v43, v64, s[44:45]                 // 000000014FE4: D10000F8 00B2812B
	v_cndmask_b32_e64 v249, v65, v43, s[44:45]                 // 000000014FEC: D10000F9 00B25741
	v_mov_b32_dpp v64, v248 row_shr:8 row_mask:0xf bank_mask:0xf// 000000014FF4: 7E8002FA FF0118F8
	v_mov_b32_dpp v65, v248 row_shl:8 row_mask:0xf bank_mask:0xf// 000000014FFC: 7E8202FA FF0108F8
	v_mov_b32_dpp v66, v249 row_shr:8 row_mask:0xf bank_mask:0xf// 000000015004: 7E8402FA FF0118F9
	v_mov_b32_dpp v67, v249 row_shl:8 row_mask:0xf bank_mask:0xf// 00000001500C: 7E8602FA FF0108F9
	v_mov_b32_e32 v68, v248                                    // 000000015014: 7E8803F8
	v_mov_b32_e32 v69, v249                                    // 000000015018: 7E8A03F9
	v_cndmask_b32_e64 v248, v68, v64, s[42:43]                 // 00000001501C: D10000F8 00AA8144
	v_cndmask_b32_e64 v250, v68, v65, s[78:79]                 // 000000015024: D10000FA 013A8344
	v_cndmask_b32_e64 v249, v69, v66, s[42:43]                 // 00000001502C: D10000F9 00AA8545
	v_cndmask_b32_e64 v251, v69, v67, s[78:79]                 // 000000015034: D10000FB 013A8745
	v_mov_b32_dpp v64, v58 row_shr:4 row_mask:0xf bank_mask:0xf// 00000001503C: 7E8002FA FF01143A
	v_mov_b32_dpp v65, v58 row_shl:4 row_mask:0xf bank_mask:0xf// 000000015044: 7E8202FA FF01043A
	v_cndmask_b32_e64 v252, v58, v64, s[44:45]                 // 00000001504C: D10000FC 00B2813A
	v_cndmask_b32_e64 v253, v65, v58, s[44:45]                 // 000000015054: D10000FD 00B27541
	v_mov_b32_dpp v64, v252 row_shr:8 row_mask:0xf bank_mask:0xf// 00000001505C: 7E8002FA FF0118FC
	v_mov_b32_dpp v65, v252 row_shl:8 row_mask:0xf bank_mask:0xf// 000000015064: 7E8202FA FF0108FC
	v_mov_b32_dpp v66, v253 row_shr:8 row_mask:0xf bank_mask:0xf// 00000001506C: 7E8402FA FF0118FD
	v_mov_b32_dpp v67, v253 row_shl:8 row_mask:0xf bank_mask:0xf// 000000015074: 7E8602FA FF0108FD
	v_mov_b32_e32 v68, v252                                    // 00000001507C: 7E8803FC
	v_mov_b32_e32 v69, v253                                    // 000000015080: 7E8A03FD
	v_cndmask_b32_e64 v252, v68, v64, s[42:43]                 // 000000015084: D10000FC 00AA8144
	v_cndmask_b32_e64 v254, v68, v65, s[78:79]                 // 00000001508C: D10000FE 013A8344
	v_cndmask_b32_e64 v253, v69, v66, s[42:43]                 // 000000015094: D10000FD 00AA8545
	v_cndmask_b32_e64 v255, v69, v67, s[78:79]                 // 00000001509C: D10000FF 013A8745
	v_cvt_f32_i32_e32 v144, v144                               // 0000000150A4: 7F200B90
	v_cvt_f32_i32_e32 v145, v145                               // 0000000150A8: 7F220B91
	v_cvt_f32_i32_e32 v146, v146                               // 0000000150AC: 7F240B92
	v_cvt_f32_i32_e32 v147, v147                               // 0000000150B0: 7F260B93
	v_cvt_f32_i32_e32 v148, v148                               // 0000000150B4: 7F280B94
	v_cvt_f32_i32_e32 v149, v149                               // 0000000150B8: 7F2A0B95
	v_cvt_f32_i32_e32 v150, v150                               // 0000000150BC: 7F2C0B96
	v_cvt_f32_i32_e32 v151, v151                               // 0000000150C0: 7F2E0B97
	v_cvt_f32_i32_e32 v152, v152                               // 0000000150C4: 7F300B98
	v_cvt_f32_i32_e32 v153, v153                               // 0000000150C8: 7F320B99
	v_cvt_f32_i32_e32 v154, v154                               // 0000000150CC: 7F340B9A
	v_cvt_f32_i32_e32 v155, v155                               // 0000000150D0: 7F360B9B
	v_cvt_f32_i32_e32 v156, v156                               // 0000000150D4: 7F380B9C
	v_cvt_f32_i32_e32 v157, v157                               // 0000000150D8: 7F3A0B9D
	v_cvt_f32_i32_e32 v158, v158                               // 0000000150DC: 7F3C0B9E
	v_cvt_f32_i32_e32 v159, v159                               // 0000000150E0: 7F3E0B9F
	v_mul_f32_e32 v144, v20, v144                              // 0000000150E4: 0B212114
	v_mul_f32_e32 v145, v20, v145                              // 0000000150E8: 0B232314
	v_mul_f32_e32 v146, v20, v146                              // 0000000150EC: 0B252514
	v_mul_f32_e32 v147, v20, v147                              // 0000000150F0: 0B272714
	v_mul_f32_e32 v148, v20, v148                              // 0000000150F4: 0B292914
	v_mul_f32_e32 v149, v20, v149                              // 0000000150F8: 0B2B2B14
	v_mul_f32_e32 v150, v20, v150                              // 0000000150FC: 0B2D2D14
	v_mul_f32_e32 v151, v20, v151                              // 000000015100: 0B2F2F14
	v_mul_f32_e32 v152, v20, v152                              // 000000015104: 0B313114
	v_mul_f32_e32 v153, v20, v153                              // 000000015108: 0B333314
	v_mul_f32_e32 v154, v20, v154                              // 00000001510C: 0B353514
	v_mul_f32_e32 v155, v20, v155                              // 000000015110: 0B373714
	v_mul_f32_e32 v156, v20, v156                              // 000000015114: 0B393914
	v_mul_f32_e32 v157, v20, v157                              // 000000015118: 0B3B3B14
	v_mul_f32_e32 v158, v20, v158                              // 00000001511C: 0B3D3D14
	v_mul_f32_e32 v159, v20, v159                              // 000000015120: 0B3F3F14
	v_mul_f32_dpp v144, v248, v144 quad_perm:[0,0,0,0] row_mask:0xf bank_mask:0xf// 000000015124: 0B2120FA FF0000F8
	v_mul_f32_dpp v145, v248, v145 quad_perm:[1,1,1,1] row_mask:0xf bank_mask:0xf// 00000001512C: 0B2322FA FF0055F8
	v_mul_f32_dpp v146, v248, v146 quad_perm:[2,2,2,2] row_mask:0xf bank_mask:0xf// 000000015134: 0B2524FA FF00AAF8
	v_mul_f32_dpp v147, v248, v147 quad_perm:[3,3,3,3] row_mask:0xf bank_mask:0xf// 00000001513C: 0B2726FA FF00FFF8
	v_mul_f32_dpp v148, v249, v148 quad_perm:[0,0,0,0] row_mask:0xf bank_mask:0xf// 000000015144: 0B2928FA FF0000F9
	v_mul_f32_dpp v149, v249, v149 quad_perm:[1,1,1,1] row_mask:0xf bank_mask:0xf// 00000001514C: 0B2B2AFA FF0055F9
	v_mul_f32_dpp v150, v249, v150 quad_perm:[2,2,2,2] row_mask:0xf bank_mask:0xf// 000000015154: 0B2D2CFA FF00AAF9
	v_mul_f32_dpp v151, v249, v151 quad_perm:[3,3,3,3] row_mask:0xf bank_mask:0xf// 00000001515C: 0B2F2EFA FF00FFF9
	v_mul_f32_dpp v152, v250, v152 quad_perm:[0,0,0,0] row_mask:0xf bank_mask:0xf// 000000015164: 0B3130FA FF0000FA
	v_mul_f32_dpp v153, v250, v153 quad_perm:[1,1,1,1] row_mask:0xf bank_mask:0xf// 00000001516C: 0B3332FA FF0055FA
	v_mul_f32_dpp v154, v250, v154 quad_perm:[2,2,2,2] row_mask:0xf bank_mask:0xf// 000000015174: 0B3534FA FF00AAFA
	v_mul_f32_dpp v155, v250, v155 quad_perm:[3,3,3,3] row_mask:0xf bank_mask:0xf// 00000001517C: 0B3736FA FF00FFFA
	v_mul_f32_dpp v156, v251, v156 quad_perm:[0,0,0,0] row_mask:0xf bank_mask:0xf// 000000015184: 0B3938FA FF0000FB
	v_mul_f32_dpp v157, v251, v157 quad_perm:[1,1,1,1] row_mask:0xf bank_mask:0xf// 00000001518C: 0B3B3AFA FF0055FB
	v_mul_f32_dpp v158, v251, v158 quad_perm:[2,2,2,2] row_mask:0xf bank_mask:0xf// 000000015194: 0B3D3CFA FF00AAFB
	v_mul_f32_dpp v159, v251, v159 quad_perm:[3,3,3,3] row_mask:0xf bank_mask:0xf// 00000001519C: 0B3F3EFA FF00FFFB
	s_cmp_le_i32 s90, s89                                      // 0000000151A4: BF05595A
	s_cbranch_scc1 label_4C5C                                  // 0000000151A8: BF850071
	v_mov_b32_e32 v66, 0xff800000                              // 0000000151AC: 7E8402FF FF800000
	s_mov_b32 s60, s90                                         // 0000000151B4: BEBC005A
	s_add_u32 s61, s89, 0xff                                   // 0000000151B8: 803DFF59 000000FF
	v_mov_b32_e32 v64, s61                                     // 0000000151C0: 7E80023D
	v_lshrrev_b32_e32 v240, 4, v0                              // 0000000151C4: 21E00084
	v_mul_i32_i24_e32 v240, 4, v240                            // 0000000151C8: 0DE1E084
	v_add_u32_e32 v240, s60, v240                              // 0000000151CC: 69E1E03C
	s_mov_b32 s61, 2                                           // 0000000151D0: BEBD0082
	s_mul_i32 s60, 16, s7                                      // 0000000151D4: 923C0790
	v_sub_u32_e64 v240, v240, s61                              // 0000000151D8: D13500F0 00007BF0
	v_add_u32_e32 v240, s60, v240                              // 0000000151E0: 69E1E03C
	v_add_u32_e32 v241, 1, v240                                // 0000000151E4: 69E3E081
	v_add_u32_e32 v242, 2, v240                                // 0000000151E8: 69E5E082
	v_add_u32_e32 v243, 3, v240                                // 0000000151EC: 69E7E083
	v_cmp_le_u32_e64 s[40:41], v240, v64                       // 0000000151F0: D0CB0028 000281F0
	v_add_u32_e32 v240, 64, v240                               // 0000000151F8: 69E1E0C0
	s_nop 0                                                    // 0000000151FC: BF800000
	v_cndmask_b32_e64 v144, v66, v144, s[40:41]                // 000000015200: D1000090 00A32142
	v_cmp_le_u32_e64 s[40:41], v241, v64                       // 000000015208: D0CB0028 000281F1
	v_add_u32_e32 v241, 64, v241                               // 000000015210: 69E3E2C0
	s_nop 0                                                    // 000000015214: BF800000
	v_cndmask_b32_e64 v145, v66, v145, s[40:41]                // 000000015218: D1000091 00A32342
	v_cmp_le_u32_e64 s[40:41], v242, v64                       // 000000015220: D0CB0028 000281F2
	v_add_u32_e32 v242, 64, v242                               // 000000015228: 69E5E4C0
	s_nop 0                                                    // 00000001522C: BF800000
	v_cndmask_b32_e64 v146, v66, v146, s[40:41]                // 000000015230: D1000092 00A32542
	v_cmp_le_u32_e64 s[40:41], v243, v64                       // 000000015238: D0CB0028 000281F3
	v_add_u32_e32 v243, 64, v243                               // 000000015240: 69E7E6C0
	s_nop 0                                                    // 000000015244: BF800000
	v_cndmask_b32_e64 v147, v66, v147, s[40:41]                // 000000015248: D1000093 00A32742
	v_cmp_le_u32_e64 s[40:41], v240, v64                       // 000000015250: D0CB0028 000281F0
	v_add_u32_e32 v240, 64, v240                               // 000000015258: 69E1E0C0
	s_nop 0                                                    // 00000001525C: BF800000
	v_cndmask_b32_e64 v148, v66, v148, s[40:41]                // 000000015260: D1000094 00A32942
	v_cmp_le_u32_e64 s[40:41], v241, v64                       // 000000015268: D0CB0028 000281F1
	v_add_u32_e32 v241, 64, v241                               // 000000015270: 69E3E2C0
	s_nop 0                                                    // 000000015274: BF800000
	v_cndmask_b32_e64 v149, v66, v149, s[40:41]                // 000000015278: D1000095 00A32B42
	v_cmp_le_u32_e64 s[40:41], v242, v64                       // 000000015280: D0CB0028 000281F2
	v_add_u32_e32 v242, 64, v242                               // 000000015288: 69E5E4C0
	s_nop 0                                                    // 00000001528C: BF800000
	v_cndmask_b32_e64 v150, v66, v150, s[40:41]                // 000000015290: D1000096 00A32D42
	v_cmp_le_u32_e64 s[40:41], v243, v64                       // 000000015298: D0CB0028 000281F3
	v_add_u32_e32 v243, 64, v243                               // 0000000152A0: 69E7E6C0
	s_nop 0                                                    // 0000000152A4: BF800000
	v_cndmask_b32_e64 v151, v66, v151, s[40:41]                // 0000000152A8: D1000097 00A32F42
	v_cmp_le_u32_e64 s[40:41], v240, v64                       // 0000000152B0: D0CB0028 000281F0
	v_add_u32_e32 v240, 64, v240                               // 0000000152B8: 69E1E0C0
	s_nop 0                                                    // 0000000152BC: BF800000
	v_cndmask_b32_e64 v152, v66, v152, s[40:41]                // 0000000152C0: D1000098 00A33142
	v_cmp_le_u32_e64 s[40:41], v241, v64                       // 0000000152C8: D0CB0028 000281F1
	v_add_u32_e32 v241, 64, v241                               // 0000000152D0: 69E3E2C0
	s_nop 0                                                    // 0000000152D4: BF800000
	v_cndmask_b32_e64 v153, v66, v153, s[40:41]                // 0000000152D8: D1000099 00A33342
	v_cmp_le_u32_e64 s[40:41], v242, v64                       // 0000000152E0: D0CB0028 000281F2
	v_add_u32_e32 v242, 64, v242                               // 0000000152E8: 69E5E4C0
	s_nop 0                                                    // 0000000152EC: BF800000
	v_cndmask_b32_e64 v154, v66, v154, s[40:41]                // 0000000152F0: D100009A 00A33542
	v_cmp_le_u32_e64 s[40:41], v243, v64                       // 0000000152F8: D0CB0028 000281F3
	v_add_u32_e32 v243, 64, v243                               // 000000015300: 69E7E6C0
	s_nop 0                                                    // 000000015304: BF800000
	v_cndmask_b32_e64 v155, v66, v155, s[40:41]                // 000000015308: D100009B 00A33742
	v_cmp_le_u32_e64 s[40:41], v240, v64                       // 000000015310: D0CB0028 000281F0
	v_add_u32_e32 v240, 64, v240                               // 000000015318: 69E1E0C0
	s_nop 0                                                    // 00000001531C: BF800000
	v_cndmask_b32_e64 v156, v66, v156, s[40:41]                // 000000015320: D100009C 00A33942
	v_cmp_le_u32_e64 s[40:41], v241, v64                       // 000000015328: D0CB0028 000281F1
	v_add_u32_e32 v241, 64, v241                               // 000000015330: 69E3E2C0
	s_nop 0                                                    // 000000015334: BF800000
	v_cndmask_b32_e64 v157, v66, v157, s[40:41]                // 000000015338: D100009D 00A33B42
	v_cmp_le_u32_e64 s[40:41], v242, v64                       // 000000015340: D0CB0028 000281F2
	v_add_u32_e32 v242, 64, v242                               // 000000015348: 69E5E4C0
	s_nop 0                                                    // 00000001534C: BF800000
	v_cndmask_b32_e64 v158, v66, v158, s[40:41]                // 000000015350: D100009E 00A33D42
	v_cmp_le_u32_e64 s[40:41], v243, v64                       // 000000015358: D0CB0028 000281F3
	v_add_u32_e32 v243, 64, v243                               // 000000015360: 69E7E6C0
	s_nop 0                                                    // 000000015364: BF800000
	v_cndmask_b32_e64 v159, v66, v159, s[40:41]                // 000000015368: D100009F 00A33F42

0000000000015370 <label_4C5C>:
	s_add_u32 s90, s91, s90                                    // 000000015370: 805A5A5B
	v_mov_b32_e32 v48, v144                                    // 000000015374: 7E600390
	v_max3_f32 v48, v144, v145, v48                            // 000000015378: D1D30030 04C32390
	v_max3_f32 v48, v146, v147, v48                            // 000000015380: D1D30030 04C32792
	v_max3_f32 v48, v148, v149, v48                            // 000000015388: D1D30030 04C32B94
	v_max3_f32 v48, v150, v151, v48                            // 000000015390: D1D30030 04C32F96
	v_max3_f32 v48, v152, v153, v48                            // 000000015398: D1D30030 04C33398
	v_max3_f32 v48, v154, v155, v48                            // 0000000153A0: D1D30030 04C3379A
	v_max3_f32 v48, v156, v157, v48                            // 0000000153A8: D1D30030 04C33B9C
	v_max3_f32 v48, v158, v159, v48                            // 0000000153B0: D1D30030 04C33F9E
	ds_write_b32 v8, v48 offset:16896                          // 0000000153B8: D81A4200 00003008
	v_mul_f32_e32 v224, v51, v224                              // 0000000153C0: 0BC1C133
	v_mul_f32_e32 v225, v51, v225                              // 0000000153C4: 0BC3C333
	v_mul_f32_e32 v226, v51, v226                              // 0000000153C8: 0BC5C533
	v_mul_f32_e32 v227, v51, v227                              // 0000000153CC: 0BC7C733
	v_mul_f32_e32 v228, v51, v228                              // 0000000153D0: 0BC9C933
	v_mul_f32_e32 v229, v51, v229                              // 0000000153D4: 0BCBCB33
	v_mul_f32_e32 v230, v51, v230                              // 0000000153D8: 0BCDCD33
	v_mul_f32_e32 v231, v51, v231                              // 0000000153DC: 0BCFCF33
	s_waitcnt lgkmcnt(0)                                       // 0000000153E0: BF8CC07F
	s_barrier                                                  // 0000000153E4: BF8A0000
	ds_read_b32 v64, v7 offset:16896                           // 0000000153E8: D86C4200 40000007
	ds_read_b32 v65, v7 offset:16960                           // 0000000153F0: D86C4240 41000007
	ds_read_b32 v66, v7 offset:17024                           // 0000000153F8: D86C4280 42000007
	ds_read_b32 v67, v7 offset:17088                           // 000000015400: D86C42C0 43000007
	ds_read_b32 v68, v7 offset:17152                           // 000000015408: D86C4300 44000007
	ds_read_b32 v69, v7 offset:17216                           // 000000015410: D86C4340 45000007
	ds_read_b32 v70, v7 offset:17280                           // 000000015418: D86C4380 46000007
	ds_read_b32 v71, v7 offset:17344                           // 000000015420: D86C43C0 47000007
	ds_read_b32 v72, v7 offset:17408                           // 000000015428: D86C4400 48000007
	ds_read_b32 v73, v7 offset:17472                           // 000000015430: D86C4440 49000007
	ds_read_b32 v74, v7 offset:17536                           // 000000015438: D86C4480 4A000007
	ds_read_b32 v75, v7 offset:17600                           // 000000015440: D86C44C0 4B000007
	ds_read_b32 v76, v7 offset:17664                           // 000000015448: D86C4500 4C000007
	ds_read_b32 v77, v7 offset:17728                           // 000000015450: D86C4540 4D000007
	ds_read_b32 v78, v7 offset:17792                           // 000000015458: D86C4580 4E000007
	ds_read_b32 v79, v7 offset:17856                           // 000000015460: D86C45C0 4F000007
	v_cvt_f32_i32_e32 v192, v192                               // 000000015468: 7F800BC0
	v_cvt_f32_i32_e32 v193, v193                               // 00000001546C: 7F820BC1
	v_cvt_f32_i32_e32 v194, v194                               // 000000015470: 7F840BC2
	v_cvt_f32_i32_e32 v195, v195                               // 000000015474: 7F860BC3
	v_cvt_f32_i32_e32 v196, v196                               // 000000015478: 7F880BC4
	v_cvt_f32_i32_e32 v197, v197                               // 00000001547C: 7F8A0BC5
	v_cvt_f32_i32_e32 v198, v198                               // 000000015480: 7F8C0BC6
	v_cvt_f32_i32_e32 v199, v199                               // 000000015484: 7F8E0BC7
	v_mul_f32_e32 v192, v46, v192                              // 000000015488: 0B81812E
	v_mul_f32_e32 v193, v46, v193                              // 00000001548C: 0B83832E
	v_mul_f32_e32 v194, v46, v194                              // 000000015490: 0B85852E
	v_mul_f32_e32 v195, v46, v195                              // 000000015494: 0B87872E
	v_mul_f32_e32 v196, v46, v196                              // 000000015498: 0B89892E
	v_mul_f32_e32 v197, v46, v197                              // 00000001549C: 0B8B8B2E
	v_mul_f32_e32 v198, v46, v198                              // 0000000154A0: 0B8D8D2E
	v_mul_f32_e32 v199, v46, v199                              // 0000000154A4: 0B8F8F2E
	s_waitcnt lgkmcnt(0)                                       // 0000000154A8: BF8CC07F
	v_max3_f32 v48, v64, v65, v48                              // 0000000154AC: D1D30030 04C28340
	v_max3_f32 v48, v66, v67, v48                              // 0000000154B4: D1D30030 04C28742
	v_max3_f32 v48, v68, v69, v48                              // 0000000154BC: D1D30030 04C28B44
	v_max3_f32 v48, v70, v71, v48                              // 0000000154C4: D1D30030 04C28F46
	v_max3_f32 v48, v72, v73, v48                              // 0000000154CC: D1D30030 04C29348
	v_max3_f32 v48, v74, v75, v48                              // 0000000154D4: D1D30030 04C2974A
	v_max3_f32 v48, v76, v77, v48                              // 0000000154DC: D1D30030 04C29B4C
	v_max3_f32 v48, v78, v79, v48                              // 0000000154E4: D1D30030 04C29F4E
	v_mov_b32_e32 v64, 0xff800000                              // 0000000154EC: 7E8002FF FF800000
	v_cmp_eq_u32_e64 s[40:41], v64, v13                        // 0000000154F4: D0CA0028 00021B40
	s_nop 1                                                    // 0000000154FC: BF800001
	v_max_f32_e32 v15, v48, v13                                // 000000015500: 161E1B30
	v_mul_f32_e32 v53, s64, v15                                // 000000015504: 0A6A1E40
	v_fma_f32 v144, v144, s64, -v53                            // 000000015508: D1CB0090 84D48190
	v_fma_f32 v145, v145, s64, -v53                            // 000000015510: D1CB0091 84D48191
	v_fma_f32 v146, v146, s64, -v53                            // 000000015518: D1CB0092 84D48192
	v_fma_f32 v147, v147, s64, -v53                            // 000000015520: D1CB0093 84D48193
	v_fma_f32 v148, v148, s64, -v53                            // 000000015528: D1CB0094 84D48194
	v_fma_f32 v149, v149, s64, -v53                            // 000000015530: D1CB0095 84D48195
	v_fma_f32 v150, v150, s64, -v53                            // 000000015538: D1CB0096 84D48196
	v_fma_f32 v151, v151, s64, -v53                            // 000000015540: D1CB0097 84D48197
	v_fma_f32 v152, v152, s64, -v53                            // 000000015548: D1CB0098 84D48198
	v_fma_f32 v153, v153, s64, -v53                            // 000000015550: D1CB0099 84D48199
	v_fma_f32 v154, v154, s64, -v53                            // 000000015558: D1CB009A 84D4819A
	v_fma_f32 v155, v155, s64, -v53                            // 000000015560: D1CB009B 84D4819B
	v_fma_f32 v156, v156, s64, -v53                            // 000000015568: D1CB009C 84D4819C
	v_fma_f32 v157, v157, s64, -v53                            // 000000015570: D1CB009D 84D4819D
	v_fma_f32 v158, v158, s64, -v53                            // 000000015578: D1CB009E 84D4819E
	v_fma_f32 v159, v159, s64, -v53                            // 000000015580: D1CB009F 84D4819F
	v_exp_f32_e32 v144, v144                                   // 000000015588: 7F204190
	v_exp_f32_e32 v145, v145                                   // 00000001558C: 7F224191
	v_exp_f32_e32 v146, v146                                   // 000000015590: 7F244192
	v_exp_f32_e32 v147, v147                                   // 000000015594: 7F264193
	v_exp_f32_e32 v148, v148                                   // 000000015598: 7F284194
	v_exp_f32_e32 v149, v149                                   // 00000001559C: 7F2A4195
	v_exp_f32_e32 v150, v150                                   // 0000000155A0: 7F2C4196
	v_exp_f32_e32 v151, v151                                   // 0000000155A4: 7F2E4197
	v_exp_f32_e32 v152, v152                                   // 0000000155A8: 7F304198
	v_exp_f32_e32 v153, v153                                   // 0000000155AC: 7F324199
	v_exp_f32_e32 v154, v154                                   // 0000000155B0: 7F34419A
	v_exp_f32_e32 v155, v155                                   // 0000000155B4: 7F36419B
	v_exp_f32_e32 v156, v156                                   // 0000000155B8: 7F38419C
	v_exp_f32_e32 v157, v157                                   // 0000000155BC: 7F3A419D
	v_exp_f32_e32 v158, v158                                   // 0000000155C0: 7F3C419E
	v_exp_f32_e32 v159, v159                                   // 0000000155C4: 7F3E419F
	v_mul_f32_dpp v240, v252, v144 quad_perm:[0,0,0,0] row_mask:0xf bank_mask:0xf// 0000000155C8: 0BE120FA FF0000FC
	v_mul_f32_dpp v241, v252, v145 quad_perm:[1,1,1,1] row_mask:0xf bank_mask:0xf// 0000000155D0: 0BE322FA FF0055FC
	v_mul_f32_dpp v242, v252, v146 quad_perm:[2,2,2,2] row_mask:0xf bank_mask:0xf// 0000000155D8: 0BE524FA FF00AAFC
	v_mul_f32_dpp v243, v252, v147 quad_perm:[3,3,3,3] row_mask:0xf bank_mask:0xf// 0000000155E0: 0BE726FA FF00FFFC
	v_mul_f32_dpp v244, v253, v148 quad_perm:[0,0,0,0] row_mask:0xf bank_mask:0xf// 0000000155E8: 0BE928FA FF0000FD
	v_mul_f32_dpp v245, v253, v149 quad_perm:[1,1,1,1] row_mask:0xf bank_mask:0xf// 0000000155F0: 0BEB2AFA FF0055FD
	v_mul_f32_dpp v246, v253, v150 quad_perm:[2,2,2,2] row_mask:0xf bank_mask:0xf// 0000000155F8: 0BED2CFA FF00AAFD
	v_mul_f32_dpp v247, v253, v151 quad_perm:[3,3,3,3] row_mask:0xf bank_mask:0xf// 000000015600: 0BEF2EFA FF00FFFD
	v_mul_f32_dpp v248, v254, v152 quad_perm:[0,0,0,0] row_mask:0xf bank_mask:0xf// 000000015608: 0BF130FA FF0000FE
	v_mul_f32_dpp v249, v254, v153 quad_perm:[1,1,1,1] row_mask:0xf bank_mask:0xf// 000000015610: 0BF332FA FF0055FE
	v_mul_f32_dpp v250, v254, v154 quad_perm:[2,2,2,2] row_mask:0xf bank_mask:0xf// 000000015618: 0BF534FA FF00AAFE
	v_mul_f32_dpp v251, v254, v155 quad_perm:[3,3,3,3] row_mask:0xf bank_mask:0xf// 000000015620: 0BF736FA FF00FFFE
	v_mul_f32_dpp v252, v255, v156 quad_perm:[0,0,0,0] row_mask:0xf bank_mask:0xf// 000000015628: 0BF938FA FF0000FF
	v_mul_f32_dpp v253, v255, v157 quad_perm:[1,1,1,1] row_mask:0xf bank_mask:0xf// 000000015630: 0BFB3AFA FF0055FF
	v_mul_f32_dpp v254, v255, v158 quad_perm:[2,2,2,2] row_mask:0xf bank_mask:0xf// 000000015638: 0BFD3CFA FF00AAFF
	v_mul_f32_dpp v255, v255, v159 quad_perm:[3,3,3,3] row_mask:0xf bank_mask:0xf// 000000015640: 0BFF3EFA FF00FFFF
	v_mov_b32_e32 v48, 0x358637bd                              // 000000015648: 7E6002FF 358637BD
	v_max3_f32 v48, |v240|, |v241|, v48                        // 000000015650: D1D30330 04C3E3F0
	v_max3_f32 v48, |v242|, |v243|, v48                        // 000000015658: D1D30330 04C3E7F2
	v_max3_f32 v48, |v244|, |v245|, v48                        // 000000015660: D1D30330 04C3EBF4
	v_max3_f32 v48, |v246|, |v247|, v48                        // 000000015668: D1D30330 04C3EFF6
	v_max3_f32 v48, |v248|, |v249|, v48                        // 000000015670: D1D30330 04C3F3F8
	v_max3_f32 v48, |v250|, |v251|, v48                        // 000000015678: D1D30330 04C3F7FA
	v_max3_f32 v48, |v252|, |v253|, v48                        // 000000015680: D1D30330 04C3FBFC
	v_max3_f32 v48, |v254|, |v255|, v48                        // 000000015688: D1D30330 04C3FFFE
	ds_write_b32 v8, v48 offset:20992                          // 000000015690: D81A5200 00003008
	v_sub_f32_e32 v51, v13, v15                                // 000000015698: 04661F0D
	v_cndmask_b32_e64 v51, v51, 0, s[40:41]                    // 00000001569C: D1000033 00A10133
	v_mov_b32_e32 v13, v15                                     // 0000000156A4: 7E1A030F
	v_mul_f32_e32 v51, s64, v51                                // 0000000156A8: 0A666640
	v_exp_f32_e32 v51, v51                                     // 0000000156AC: 7E664133
	s_waitcnt lgkmcnt(0)                                       // 0000000156B0: BF8CC07F
	s_barrier                                                  // 0000000156B4: BF8A0000
	ds_read_b32 v64, v7 offset:20992                           // 0000000156B8: D86C5200 40000007
	ds_read_b32 v65, v7 offset:21056                           // 0000000156C0: D86C5240 41000007
	ds_read_b32 v66, v7 offset:21120                           // 0000000156C8: D86C5280 42000007
	ds_read_b32 v67, v7 offset:21184                           // 0000000156D0: D86C52C0 43000007
	ds_read_b32 v68, v7 offset:21248                           // 0000000156D8: D86C5300 44000007
	ds_read_b32 v69, v7 offset:21312                           // 0000000156E0: D86C5340 45000007
	ds_read_b32 v70, v7 offset:21376                           // 0000000156E8: D86C5380 46000007
	ds_read_b32 v71, v7 offset:21440                           // 0000000156F0: D86C53C0 47000007
	ds_read_b32 v72, v7 offset:21504                           // 0000000156F8: D86C5400 48000007
	ds_read_b32 v73, v7 offset:21568                           // 000000015700: D86C5440 49000007
	ds_read_b32 v74, v7 offset:21632                           // 000000015708: D86C5480 4A000007
	ds_read_b32 v75, v7 offset:21696                           // 000000015710: D86C54C0 4B000007
	ds_read_b32 v76, v7 offset:21760                           // 000000015718: D86C5500 4C000007
	ds_read_b32 v77, v7 offset:21824                           // 000000015720: D86C5540 4D000007
	ds_read_b32 v78, v7 offset:21888                           // 000000015728: D86C5580 4E000007
	ds_read_b32 v79, v7 offset:21952                           // 000000015730: D86C55C0 4F000007
	v_mul_f32_e32 v40, v51, v40                                // 000000015738: 0A505133
	v_mov_b32_e32 v15, v144                                    // 00000001573C: 7E1E0390
	v_add_f32_e32 v15, v145, v15                               // 000000015740: 021E1F91
	v_add_f32_e32 v15, v146, v15                               // 000000015744: 021E1F92
	v_add_f32_e32 v15, v147, v15                               // 000000015748: 021E1F93
	v_add_f32_e32 v15, v148, v15                               // 00000001574C: 021E1F94
	v_add_f32_e32 v15, v149, v15                               // 000000015750: 021E1F95
	v_add_f32_e32 v15, v150, v15                               // 000000015754: 021E1F96
	v_add_f32_e32 v15, v151, v15                               // 000000015758: 021E1F97
	v_add_f32_e32 v15, v152, v15                               // 00000001575C: 021E1F98
	v_add_f32_e32 v15, v153, v15                               // 000000015760: 021E1F99
	v_add_f32_e32 v15, v154, v15                               // 000000015764: 021E1F9A
	v_add_f32_e32 v15, v155, v15                               // 000000015768: 021E1F9B
	v_add_f32_e32 v15, v156, v15                               // 00000001576C: 021E1F9C
	v_add_f32_e32 v15, v157, v15                               // 000000015770: 021E1F9D
	v_add_f32_e32 v15, v158, v15                               // 000000015774: 021E1F9E
	v_add_f32_e32 v15, v159, v15                               // 000000015778: 021E1F9F
	v_add_f32_e32 v40, v15, v40                                // 00000001577C: 0250510F
	s_waitcnt lgkmcnt(0)                                       // 000000015780: BF8CC07F
	v_max3_f32 v48, |v64|, |v65|, v48                          // 000000015784: D1D30330 04C28340
	v_max3_f32 v48, |v66|, |v67|, v48                          // 00000001578C: D1D30330 04C28742
	v_max3_f32 v48, |v68|, |v69|, v48                          // 000000015794: D1D30330 04C28B44
	v_max3_f32 v48, |v70|, |v71|, v48                          // 00000001579C: D1D30330 04C28F46
	v_max3_f32 v48, |v72|, |v73|, v48                          // 0000000157A4: D1D30330 04C29348
	v_max3_f32 v48, |v74|, |v75|, v48                          // 0000000157AC: D1D30330 04C2974A
	v_max3_f32 v48, |v76|, |v77|, v48                          // 0000000157B4: D1D30330 04C29B4C
	v_max3_f32 v48, |v78|, |v79|, v48                          // 0000000157BC: D1D30330 04C29F4E
	s_nop 2                                                    // 0000000157C4: BF800002
	v_rcp_f32_e32 v48, v48                                     // 0000000157C8: 7E604530
	s_nop 1                                                    // 0000000157CC: BF800001
	v_mul_f32_e32 v48, 0x42fe0000, v48                         // 0000000157D0: 0A6060FF 42FE0000
	v_mul_f32_e32 v144, v48, v240                              // 0000000157D8: 0B21E130
	v_mul_f32_e32 v145, v48, v241                              // 0000000157DC: 0B23E330
	v_mul_f32_e32 v146, v48, v242                              // 0000000157E0: 0B25E530
	v_mul_f32_e32 v147, v48, v243                              // 0000000157E4: 0B27E730
	v_mul_f32_e32 v148, v48, v244                              // 0000000157E8: 0B29E930
	v_mul_f32_e32 v149, v48, v245                              // 0000000157EC: 0B2BEB30
	v_mul_f32_e32 v150, v48, v246                              // 0000000157F0: 0B2DED30
	v_mul_f32_e32 v151, v48, v247                              // 0000000157F4: 0B2FEF30
	v_mul_f32_e32 v152, v48, v248                              // 0000000157F8: 0B31F130
	v_mul_f32_e32 v153, v48, v249                              // 0000000157FC: 0B33F330
	v_mul_f32_e32 v154, v48, v250                              // 000000015800: 0B35F530
	v_mul_f32_e32 v155, v48, v251                              // 000000015804: 0B37F730
	v_mul_f32_e32 v156, v48, v252                              // 000000015808: 0B39F930
	v_mul_f32_e32 v157, v48, v253                              // 00000001580C: 0B3BFB30
	v_mul_f32_e32 v158, v48, v254                              // 000000015810: 0B3DFD30
	v_mul_f32_e32 v159, v48, v255                              // 000000015814: 0B3FFF30
	v_cvt_i32_f32_e32 v144, v144                               // 000000015818: 7F201190
	v_cvt_i32_f32_e32 v145, v145                               // 00000001581C: 7F221191
	v_cvt_i32_f32_e32 v146, v146                               // 000000015820: 7F241192
	v_cvt_i32_f32_e32 v147, v147                               // 000000015824: 7F261193
	v_cvt_i32_f32_e32 v148, v148                               // 000000015828: 7F281194
	v_cvt_i32_f32_e32 v149, v149                               // 00000001582C: 7F2A1195
	v_cvt_i32_f32_e32 v150, v150                               // 000000015830: 7F2C1196
	v_cvt_i32_f32_e32 v151, v151                               // 000000015834: 7F2E1197
	v_cvt_i32_f32_e32 v152, v152                               // 000000015838: 7F301198
	v_cvt_i32_f32_e32 v153, v153                               // 00000001583C: 7F321199
	v_cvt_i32_f32_e32 v154, v154                               // 000000015840: 7F34119A
	v_cvt_i32_f32_e32 v155, v155                               // 000000015844: 7F36119B
	v_cvt_i32_f32_e32 v156, v156                               // 000000015848: 7F38119C
	v_cvt_i32_f32_e32 v157, v157                               // 00000001584C: 7F3A119D
	v_cvt_i32_f32_e32 v158, v158                               // 000000015850: 7F3C119E
	v_cvt_i32_f32_e32 v159, v159                               // 000000015854: 7F3E119F
	v_perm_b32 v144, v145, v144, s53                           // 000000015858: D1ED0090 00D72191
	v_perm_b32 v144, v146, v144, s54                           // 000000015860: D1ED0090 00DB2192
	v_perm_b32 v144, v147, v144, s55                           // 000000015868: D1ED0090 00DF2193
	v_perm_b32 v145, v149, v148, s53                           // 000000015870: D1ED0091 00D72995
	v_perm_b32 v145, v150, v145, s54                           // 000000015878: D1ED0091 00DB2396
	v_perm_b32 v145, v151, v145, s55                           // 000000015880: D1ED0091 00DF2397
	v_perm_b32 v146, v153, v152, s53                           // 000000015888: D1ED0092 00D73199
	v_perm_b32 v146, v154, v146, s54                           // 000000015890: D1ED0092 00DB259A
	v_perm_b32 v146, v155, v146, s55                           // 000000015898: D1ED0092 00DF259B
	v_perm_b32 v147, v157, v156, s53                           // 0000000158A0: D1ED0093 00D7399D
	v_perm_b32 v147, v158, v147, s54                           // 0000000158A8: D1ED0093 00DB279E
	v_perm_b32 v147, v159, v147, s55                           // 0000000158B0: D1ED0093 00DF279F
	ds_write_b32 v10, v144 offset:33280                        // 0000000158B8: D81A8200 0000900A
	ds_write_b32 v10, v145 offset:34304                        // 0000000158C0: D81A8600 0000910A
	ds_write_b32 v10, v146 offset:35328                        // 0000000158C8: D81A8A00 0000920A
	ds_write_b32 v10, v147 offset:36352                        // 0000000158D0: D81A8E00 0000930A
	v_add_f32_e32 v224, v224, v192                             // 0000000158D8: 03C181E0
	v_add_f32_e32 v225, v225, v193                             // 0000000158DC: 03C383E1
	v_add_f32_e32 v226, v226, v194                             // 0000000158E0: 03C585E2
	v_add_f32_e32 v227, v227, v195                             // 0000000158E4: 03C787E3
	v_add_f32_e32 v228, v228, v196                             // 0000000158E8: 03C989E4
	v_add_f32_e32 v229, v229, v197                             // 0000000158EC: 03CB8BE5
	v_add_f32_e32 v230, v230, v198                             // 0000000158F0: 03CD8DE6
	v_add_f32_e32 v231, v231, v199                             // 0000000158F4: 03CF8FE7
	v_rcp_f32_e32 v46, v48                                     // 0000000158F8: 7E5C4530
	s_waitcnt lgkmcnt(0)                                       // 0000000158FC: BF8CC07F
	s_barrier                                                  // 000000015900: BF8A0000
	ds_read_b64 v[144:145], v9 offset:33280                    // 000000015904: D8EC8200 90000009
	ds_read_b64 v[146:147], v9 offset:33408                    // 00000001590C: D8EC8280 92000009
	ds_read_b64 v[148:149], v9 offset:34304                    // 000000015914: D8EC8600 94000009
	ds_read_b64 v[150:151], v9 offset:34432                    // 00000001591C: D8EC8680 96000009
	ds_read_b64 v[152:153], v9 offset:35328                    // 000000015924: D8EC8A00 98000009
	ds_read_b64 v[154:155], v9 offset:35456                    // 00000001592C: D8EC8A80 9A000009
	ds_read_b64 v[156:157], v9 offset:36352                    // 000000015934: D8EC8E00 9C000009
	ds_read_b64 v[158:159], v9 offset:36480                    // 00000001593C: D8EC8E80 9E000009
	s_waitcnt vmcnt(15)                                        // 000000015944: BF8C0F7F
	v_mfma_i32_16x16x32_i8 v[176:179], a[96:97], v[112:113], 0 // 000000015948: D3D700B0 0A02E160
	v_mfma_i32_16x16x32_i8 v[176:179], a[98:99], v[114:115], v[176:179]// 000000015950: D3D700B0 0EC2E562
	buffer_load_dwordx4 a[80:83], v30, s[20:23], 0 offen offset:1024// 000000015958: E05C1400 8085501E
	v_mfma_i32_16x16x32_i8 v[176:179], a[100:101], v[116:117], v[176:179]// 000000015960: D3D700B0 0EC2E964
	v_mfma_i32_16x16x32_i8 v[176:179], a[102:103], v[118:119], v[176:179]// 000000015968: D3D700B0 0EC2ED66
	v_mfma_i32_16x16x32_i8 v[176:179], a[104:105], v[120:121], v[176:179]// 000000015970: D3D700B0 0EC2F168
	v_mfma_i32_16x16x32_i8 v[176:179], a[106:107], v[122:123], v[176:179]// 000000015978: D3D700B0 0EC2F56A
	buffer_load_dwordx4 a[84:87], v31, s[20:23], 0 offen offset:1024// 000000015980: E05C1400 8085541F
	v_mfma_i32_16x16x32_i8 v[176:179], a[108:109], v[124:125], v[176:179]// 000000015988: D3D700B0 0EC2F96C
	v_mfma_i32_16x16x32_i8 v[176:179], a[110:111], v[126:127], v[176:179]// 000000015990: D3D700B0 0EC2FD6E
	v_mfma_i32_16x16x32_i8 v[180:183], a[112:113], v[112:113], 0// 000000015998: D3D700B4 0A02E170
	v_mfma_i32_16x16x32_i8 v[180:183], a[114:115], v[114:115], v[180:183]// 0000000159A0: D3D700B4 0ED2E572
	buffer_load_dwordx4 a[88:91], v32, s[20:23], 0 offen offset:1024// 0000000159A8: E05C1400 80855820
	v_mfma_i32_16x16x32_i8 v[180:183], a[116:117], v[116:117], v[180:183]// 0000000159B0: D3D700B4 0ED2E974
	v_mfma_i32_16x16x32_i8 v[180:183], a[118:119], v[118:119], v[180:183]// 0000000159B8: D3D700B4 0ED2ED76
	v_mfma_i32_16x16x32_i8 v[180:183], a[120:121], v[120:121], v[180:183]// 0000000159C0: D3D700B4 0ED2F178
	v_mfma_i32_16x16x32_i8 v[180:183], a[122:123], v[122:123], v[180:183]// 0000000159C8: D3D700B4 0ED2F57A
	buffer_load_dwordx4 a[92:95], v33, s[20:23], 0 offen offset:1024// 0000000159D0: E05C1400 80855C21
	v_mfma_i32_16x16x32_i8 v[180:183], a[124:125], v[124:125], v[180:183]// 0000000159D8: D3D700B4 0ED2F97C
	s_lshr_b32 s57, s70, 4                                     // 0000000159E0: 8F398446
	s_add_u32 s57, 48, s57                                     // 0000000159E4: 803939B0
	v_mfma_i32_16x16x32_i8 v[180:183], a[126:127], v[126:127], v[180:183]// 0000000159E8: D3D700B4 0ED2FD7E
	s_cmp_ge_u32 s57, s73                                      // 0000000159F0: BF094939
	s_cselect_b32 s56, 0, s56                                  // 0000000159F4: 85383880
	v_mfma_i32_16x16x32_i8 v[184:187], a[96:97], v[128:129], 0 // 0000000159F8: D3D700B8 0A030160
	v_mfma_i32_16x16x32_i8 v[184:187], a[98:99], v[130:131], v[184:187]// 000000015A00: D3D700B8 0EE30562
	v_mfma_i32_16x16x32_i8 v[184:187], a[100:101], v[132:133], v[184:187]// 000000015A08: D3D700B8 0EE30964
	v_mfma_i32_16x16x32_i8 v[184:187], a[102:103], v[134:135], v[184:187]// 000000015A10: D3D700B8 0EE30D66
	v_mfma_i32_16x16x32_i8 v[184:187], a[104:105], v[136:137], v[184:187]// 000000015A18: D3D700B8 0EE31168
	v_mfma_i32_16x16x32_i8 v[184:187], a[106:107], v[138:139], v[184:187]// 000000015A20: D3D700B8 0EE3156A
	v_mfma_i32_16x16x32_i8 v[184:187], a[108:109], v[140:141], v[184:187]// 000000015A28: D3D700B8 0EE3196C
	v_mfma_i32_16x16x32_i8 v[184:187], a[110:111], v[142:143], v[184:187]// 000000015A30: D3D700B8 0EE31D6E
	v_mfma_i32_16x16x32_i8 v[188:191], a[112:113], v[128:129], 0// 000000015A38: D3D700BC 0A030170
	v_mfma_i32_16x16x32_i8 v[188:191], a[114:115], v[130:131], v[188:191]// 000000015A40: D3D700BC 0EF30572
	v_mfma_i32_16x16x32_i8 v[188:191], a[116:117], v[132:133], v[188:191]// 000000015A48: D3D700BC 0EF30974
	v_mfma_i32_16x16x32_i8 v[188:191], a[118:119], v[134:135], v[188:191]// 000000015A50: D3D700BC 0EF30D76
	v_mfma_i32_16x16x32_i8 v[188:191], a[120:121], v[136:137], v[188:191]// 000000015A58: D3D700BC 0EF31178
	v_mfma_i32_16x16x32_i8 v[188:191], a[122:123], v[138:139], v[188:191]// 000000015A60: D3D700BC 0EF3157A
	v_mfma_i32_16x16x32_i8 v[188:191], a[124:125], v[140:141], v[188:191]// 000000015A68: D3D700BC 0EF3197C
	v_mfma_i32_16x16x32_i8 v[188:191], a[126:127], v[142:143], v[188:191]// 000000015A70: D3D700BC 0EF31D7E
	v_mfma_i32_16x16x32_i8 v[192:195], a[96:97], v[144:145], 0 // 000000015A78: D3D700C0 0A032160
	v_mfma_i32_16x16x32_i8 v[192:195], a[98:99], v[146:147], v[192:195]// 000000015A80: D3D700C0 0F032562
	v_mfma_i32_16x16x32_i8 v[192:195], a[100:101], v[148:149], v[192:195]// 000000015A88: D3D700C0 0F032964
	v_mfma_i32_16x16x32_i8 v[192:195], a[102:103], v[150:151], v[192:195]// 000000015A90: D3D700C0 0F032D66
	v_mfma_i32_16x16x32_i8 v[192:195], a[104:105], v[152:153], v[192:195]// 000000015A98: D3D700C0 0F033168
	v_mfma_i32_16x16x32_i8 v[192:195], a[106:107], v[154:155], v[192:195]// 000000015AA0: D3D700C0 0F03356A
	v_mfma_i32_16x16x32_i8 v[192:195], a[108:109], v[156:157], v[192:195]// 000000015AA8: D3D700C0 0F03396C
	v_mfma_i32_16x16x32_i8 v[192:195], a[110:111], v[158:159], v[192:195]// 000000015AB0: D3D700C0 0F033D6E
	v_mfma_i32_16x16x32_i8 v[196:199], a[112:113], v[144:145], 0// 000000015AB8: D3D700C4 0A032170
	v_mfma_i32_16x16x32_i8 v[196:199], a[114:115], v[146:147], v[196:199]// 000000015AC0: D3D700C4 0F132572
	v_mfma_i32_16x16x32_i8 v[196:199], a[116:117], v[148:149], v[196:199]// 000000015AC8: D3D700C4 0F132974
	v_mfma_i32_16x16x32_i8 v[196:199], a[118:119], v[150:151], v[196:199]// 000000015AD0: D3D700C4 0F132D76
	v_mfma_i32_16x16x32_i8 v[196:199], a[120:121], v[152:153], v[196:199]// 000000015AD8: D3D700C4 0F133178
	v_mfma_i32_16x16x32_i8 v[196:199], a[122:123], v[154:155], v[196:199]// 000000015AE0: D3D700C4 0F13357A
	v_mfma_i32_16x16x32_i8 v[196:199], a[124:125], v[156:157], v[196:199]// 000000015AE8: D3D700C4 0F13397C
	v_mfma_i32_16x16x32_i8 v[196:199], a[126:127], v[158:159], v[196:199]// 000000015AF0: D3D700C4 0F133D7E
	v_add_u32_e32 v1, s56, v1                                  // 000000015AF8: 68020238
	s_addk_i32 s70, 0x100                                      // 000000015AFC: B7460100
	s_cmp_lt_i32 s70, s71                                      // 000000015B00: BF044746
	s_cbranch_scc0 label_4E43                                  // 000000015B04: BF840001
	s_branch label_3E02                                        // 000000015B08: BF82EFBF

0000000000015b0c <label_4E43>:
	s_nop 0                                                    // 000000015B0C: BF800000
	s_nop 0                                                    // 000000015B10: BF800000
	s_branch label_5E87                                        // 000000015B14: BF821041

0000000000015b18 <label_4E46>:
	s_waitcnt vmcnt(8) lgkmcnt(0)                              // 000000015B18: BF8C0078
	v_mul_u32_u24_dpp v64, v17, v54 row_newbcast:0 row_mask:0xf bank_mask:0xf// 000000015B1C: 10806CFA FF015011
	v_mul_u32_u24_dpp v65, v17, v54 row_newbcast:4 row_mask:0xf bank_mask:0xf// 000000015B24: 10826CFA FF015411
	v_mul_u32_u24_dpp v66, v17, v54 row_newbcast:8 row_mask:0xf bank_mask:0xf// 000000015B2C: 10846CFA FF015811
	v_mul_u32_u24_dpp v67, v17, v54 row_newbcast:12 row_mask:0xf bank_mask:0xf// 000000015B34: 10866CFA FF015C11
	v_add_u32_e32 v26, v64, v5                                 // 000000015B3C: 68340B40
	v_add_u32_e32 v27, v65, v5                                 // 000000015B40: 68360B41
	v_add_u32_e32 v28, v66, v5                                 // 000000015B44: 68380B42
	v_add_u32_e32 v29, v67, v5                                 // 000000015B48: 683A0B43
	v_mul_u32_u24_dpp v64, v17, v63 quad_perm:[0,0,0,0] row_mask:0xf bank_mask:0xf// 000000015B4C: 10807EFA FF000011
	v_add_u32_e32 v3, v64, v59                                 // 000000015B54: 68067740
	v_mul_u32_u24_dpp v64, v17, v63 quad_perm:[0,0,0,0] row_mask:0xf bank_mask:0xf// 000000015B58: 10807EFA FF000011
	v_add_u32_e32 v56, v64, v60                                // 000000015B60: 68707940
	v_mfma_i32_16x16x32_i8 v[112:115], a[0:1], v[80:81], 0     // 000000015B64: D3D70070 0A02A100
	buffer_load_dwordx4 a[32:35], v26, s[16:19], 0 offen       // 000000015B6C: E05C1000 8084201A
	v_mfma_i32_16x16x32_i8 v[112:115], a[2:3], v[82:83], v[112:115]// 000000015B74: D3D70070 0DC2A502
	v_mfma_i32_16x16x32_i8 v[112:115], a[4:5], v[84:85], v[112:115]// 000000015B7C: D3D70070 0DC2A904
	buffer_load_dword v16, v1, s[24:27], 0 offen               // 000000015B84: E0501000 80061001
	v_mfma_i32_16x16x32_i8 v[112:115], a[6:7], v[86:87], v[112:115]// 000000015B8C: D3D70070 0DC2AD06
	v_mfma_i32_16x16x32_i8 v[116:119], a[8:9], v[80:81], 0     // 000000015B94: D3D70074 0A02A108
	buffer_load_dwordx4 a[36:39], v26, s[16:19], 0 offen offset:1024// 000000015B9C: E05C1400 8084241A
	v_mfma_i32_16x16x32_i8 v[116:119], a[10:11], v[82:83], v[116:119]// 000000015BA4: D3D70074 0DD2A50A
	v_mfma_i32_16x16x32_i8 v[116:119], a[12:13], v[84:85], v[116:119]// 000000015BAC: D3D70074 0DD2A90C
	v_mfma_i32_16x16x32_i8 v[116:119], a[14:15], v[86:87], v[116:119]// 000000015BB4: D3D70074 0DD2AD0E
	v_mfma_i32_16x16x32_i8 v[120:123], a[16:17], v[80:81], 0   // 000000015BBC: D3D70078 0A02A110
	buffer_load_dwordx4 a[40:43], v27, s[16:19], 0 offen       // 000000015BC4: E05C1000 8084281B
	v_mfma_i32_16x16x32_i8 v[120:123], a[18:19], v[82:83], v[120:123]// 000000015BCC: D3D70078 0DE2A512
	v_mfma_i32_16x16x32_i8 v[120:123], a[20:21], v[84:85], v[120:123]// 000000015BD4: D3D70078 0DE2A914
	v_mfma_i32_16x16x32_i8 v[120:123], a[22:23], v[86:87], v[120:123]// 000000015BDC: D3D70078 0DE2AD16
	v_mfma_i32_16x16x32_i8 v[124:127], a[24:25], v[80:81], 0   // 000000015BE4: D3D7007C 0A02A118
	buffer_load_dwordx4 a[44:47], v27, s[16:19], 0 offen offset:1024// 000000015BEC: E05C1400 80842C1B
	v_mfma_i32_16x16x32_i8 v[124:127], a[26:27], v[82:83], v[124:127]// 000000015BF4: D3D7007C 0DF2A51A
	v_mfma_i32_16x16x32_i8 v[124:127], a[28:29], v[84:85], v[124:127]// 000000015BFC: D3D7007C 0DF2A91C
	v_mfma_i32_16x16x32_i8 v[124:127], a[30:31], v[86:87], v[124:127]// 000000015C04: D3D7007C 0DF2AD1E
	v_mfma_i32_16x16x32_i8 v[128:131], a[0:1], v[88:89], 0     // 000000015C0C: D3D70080 0A02B100
	v_mfma_i32_16x16x32_i8 v[128:131], a[2:3], v[90:91], v[128:131]// 000000015C14: D3D70080 0E02B502
	v_mfma_i32_16x16x32_i8 v[128:131], a[4:5], v[92:93], v[128:131]// 000000015C1C: D3D70080 0E02B904
	v_mfma_i32_16x16x32_i8 v[128:131], a[6:7], v[94:95], v[128:131]// 000000015C24: D3D70080 0E02BD06
	v_mfma_i32_16x16x32_i8 v[132:135], a[8:9], v[88:89], 0     // 000000015C2C: D3D70084 0A02B108
	v_mfma_i32_16x16x32_i8 v[132:135], a[10:11], v[90:91], v[132:135]// 000000015C34: D3D70084 0E12B50A
	v_mfma_i32_16x16x32_i8 v[132:135], a[12:13], v[92:93], v[132:135]// 000000015C3C: D3D70084 0E12B90C
	v_mfma_i32_16x16x32_i8 v[132:135], a[14:15], v[94:95], v[132:135]// 000000015C44: D3D70084 0E12BD0E
	v_mfma_i32_16x16x32_i8 v[136:139], a[16:17], v[88:89], 0   // 000000015C4C: D3D70088 0A02B110
	v_mfma_i32_16x16x32_i8 v[136:139], a[18:19], v[90:91], v[136:139]// 000000015C54: D3D70088 0E22B512
	v_mfma_i32_16x16x32_i8 v[136:139], a[20:21], v[92:93], v[136:139]// 000000015C5C: D3D70088 0E22B914
	v_mfma_i32_16x16x32_i8 v[136:139], a[22:23], v[94:95], v[136:139]// 000000015C64: D3D70088 0E22BD16
	v_mfma_i32_16x16x32_i8 v[140:143], a[24:25], v[88:89], 0   // 000000015C6C: D3D7008C 0A02B118
	v_mfma_i32_16x16x32_i8 v[140:143], a[26:27], v[90:91], v[140:143]// 000000015C74: D3D7008C 0E32B51A
	v_mfma_i32_16x16x32_i8 v[140:143], a[28:29], v[92:93], v[140:143]// 000000015C7C: D3D7008C 0E32B91C
	v_mfma_i32_16x16x32_i8 v[140:143], a[30:31], v[94:95], v[140:143]// 000000015C84: D3D7008C 0E32BD1E
	v_mfma_i32_16x16x32_i8 v[144:147], a[0:1], v[96:97], 0     // 000000015C8C: D3D70090 0A02C100
	v_mfma_i32_16x16x32_i8 v[144:147], a[2:3], v[98:99], v[144:147]// 000000015C94: D3D70090 0E42C502
	v_mfma_i32_16x16x32_i8 v[144:147], a[4:5], v[100:101], v[144:147]// 000000015C9C: D3D70090 0E42C904
	v_mfma_i32_16x16x32_i8 v[144:147], a[6:7], v[102:103], v[144:147]// 000000015CA4: D3D70090 0E42CD06
	v_mfma_i32_16x16x32_i8 v[148:151], a[8:9], v[96:97], 0     // 000000015CAC: D3D70094 0A02C108
	v_mfma_i32_16x16x32_i8 v[148:151], a[10:11], v[98:99], v[148:151]// 000000015CB4: D3D70094 0E52C50A
	v_mfma_i32_16x16x32_i8 v[148:151], a[12:13], v[100:101], v[148:151]// 000000015CBC: D3D70094 0E52C90C
	v_mfma_i32_16x16x32_i8 v[148:151], a[14:15], v[102:103], v[148:151]// 000000015CC4: D3D70094 0E52CD0E
	v_mfma_i32_16x16x32_i8 v[152:155], a[16:17], v[96:97], 0   // 000000015CCC: D3D70098 0A02C110
	v_mfma_i32_16x16x32_i8 v[152:155], a[18:19], v[98:99], v[152:155]// 000000015CD4: D3D70098 0E62C512
	v_mfma_i32_16x16x32_i8 v[152:155], a[20:21], v[100:101], v[152:155]// 000000015CDC: D3D70098 0E62C914
	v_mfma_i32_16x16x32_i8 v[152:155], a[22:23], v[102:103], v[152:155]// 000000015CE4: D3D70098 0E62CD16
	v_mfma_i32_16x16x32_i8 v[156:159], a[24:25], v[96:97], 0   // 000000015CEC: D3D7009C 0A02C118
	v_mfma_i32_16x16x32_i8 v[156:159], a[26:27], v[98:99], v[156:159]// 000000015CF4: D3D7009C 0E72C51A
	v_mfma_i32_16x16x32_i8 v[156:159], a[28:29], v[100:101], v[156:159]// 000000015CFC: D3D7009C 0E72C91C
	v_mfma_i32_16x16x32_i8 v[156:159], a[30:31], v[102:103], v[156:159]// 000000015D04: D3D7009C 0E72CD1E
	buffer_load_dword v43, v3, s[32:35], 0 offen               // 000000015D0C: E0501000 80082B03
	v_mov_b32_dpp v64, v42 row_shr:4 row_mask:0xf bank_mask:0xf// 000000015D14: 7E8002FA FF01142A
	v_mov_b32_dpp v65, v42 row_shl:4 row_mask:0xf bank_mask:0xf// 000000015D1C: 7E8202FA FF01042A
	v_cndmask_b32_e64 v248, v42, v64, s[44:45]                 // 000000015D24: D10000F8 00B2812A
	v_cndmask_b32_e64 v249, v65, v42, s[44:45]                 // 000000015D2C: D10000F9 00B25541
	v_mov_b32_dpp v64, v248 row_shr:8 row_mask:0xf bank_mask:0xf// 000000015D34: 7E8002FA FF0118F8
	v_mov_b32_dpp v65, v248 row_shl:8 row_mask:0xf bank_mask:0xf// 000000015D3C: 7E8202FA FF0108F8
	v_mov_b32_dpp v66, v249 row_shr:8 row_mask:0xf bank_mask:0xf// 000000015D44: 7E8402FA FF0118F9
	v_mov_b32_dpp v67, v249 row_shl:8 row_mask:0xf bank_mask:0xf// 000000015D4C: 7E8602FA FF0108F9
	v_mov_b32_e32 v68, v248                                    // 000000015D54: 7E8803F8
	v_mov_b32_e32 v69, v249                                    // 000000015D58: 7E8A03F9
	v_cndmask_b32_e64 v248, v68, v64, s[42:43]                 // 000000015D5C: D10000F8 00AA8144
	v_cndmask_b32_e64 v250, v68, v65, s[78:79]                 // 000000015D64: D10000FA 013A8344
	v_cndmask_b32_e64 v249, v69, v66, s[42:43]                 // 000000015D6C: D10000F9 00AA8545
	v_cndmask_b32_e64 v251, v69, v67, s[78:79]                 // 000000015D74: D10000FB 013A8745
	v_mov_b32_dpp v64, v57 row_shr:4 row_mask:0xf bank_mask:0xf// 000000015D7C: 7E8002FA FF011439
	v_mov_b32_dpp v65, v57 row_shl:4 row_mask:0xf bank_mask:0xf// 000000015D84: 7E8202FA FF010439
	v_cndmask_b32_e64 v252, v57, v64, s[44:45]                 // 000000015D8C: D10000FC 00B28139
	v_cndmask_b32_e64 v253, v65, v57, s[44:45]                 // 000000015D94: D10000FD 00B27341
	v_mov_b32_dpp v64, v252 row_shr:8 row_mask:0xf bank_mask:0xf// 000000015D9C: 7E8002FA FF0118FC
	v_mov_b32_dpp v65, v252 row_shl:8 row_mask:0xf bank_mask:0xf// 000000015DA4: 7E8202FA FF0108FC
	v_mov_b32_dpp v66, v253 row_shr:8 row_mask:0xf bank_mask:0xf// 000000015DAC: 7E8402FA FF0118FD
	v_mov_b32_dpp v67, v253 row_shl:8 row_mask:0xf bank_mask:0xf// 000000015DB4: 7E8602FA FF0108FD
	v_mov_b32_e32 v68, v252                                    // 000000015DBC: 7E8803FC
	v_mov_b32_e32 v69, v253                                    // 000000015DC0: 7E8A03FD
	v_cndmask_b32_e64 v252, v68, v64, s[42:43]                 // 000000015DC4: D10000FC 00AA8144
	v_cndmask_b32_e64 v254, v68, v65, s[78:79]                 // 000000015DCC: D10000FE 013A8344
	v_cndmask_b32_e64 v253, v69, v66, s[42:43]                 // 000000015DD4: D10000FD 00AA8545
	v_cndmask_b32_e64 v255, v69, v67, s[78:79]                 // 000000015DDC: D10000FF 013A8745
	buffer_load_dword v58, v56, s[36:39], 0 offen              // 000000015DE4: E0501000 80093A38
	v_cvt_f32_i32_e32 v112, v112                               // 000000015DEC: 7EE00B70
	v_cvt_f32_i32_e32 v113, v113                               // 000000015DF0: 7EE20B71
	v_cvt_f32_i32_e32 v114, v114                               // 000000015DF4: 7EE40B72
	v_cvt_f32_i32_e32 v115, v115                               // 000000015DF8: 7EE60B73
	v_cvt_f32_i32_e32 v116, v116                               // 000000015DFC: 7EE80B74
	v_cvt_f32_i32_e32 v117, v117                               // 000000015E00: 7EEA0B75
	v_cvt_f32_i32_e32 v118, v118                               // 000000015E04: 7EEC0B76
	v_cvt_f32_i32_e32 v119, v119                               // 000000015E08: 7EEE0B77
	v_cvt_f32_i32_e32 v120, v120                               // 000000015E0C: 7EF00B78
	v_cvt_f32_i32_e32 v121, v121                               // 000000015E10: 7EF20B79
	v_cvt_f32_i32_e32 v122, v122                               // 000000015E14: 7EF40B7A
	v_cvt_f32_i32_e32 v123, v123                               // 000000015E18: 7EF60B7B
	v_cvt_f32_i32_e32 v124, v124                               // 000000015E1C: 7EF80B7C
	v_cvt_f32_i32_e32 v125, v125                               // 000000015E20: 7EFA0B7D
	v_cvt_f32_i32_e32 v126, v126                               // 000000015E24: 7EFC0B7E
	v_cvt_f32_i32_e32 v127, v127                               // 000000015E28: 7EFE0B7F
	v_mul_f32_e32 v112, v18, v112                              // 000000015E2C: 0AE0E112
	v_mul_f32_e32 v113, v18, v113                              // 000000015E30: 0AE2E312
	v_mul_f32_e32 v114, v18, v114                              // 000000015E34: 0AE4E512
	v_mul_f32_e32 v115, v18, v115                              // 000000015E38: 0AE6E712
	v_mul_f32_e32 v116, v18, v116                              // 000000015E3C: 0AE8E912
	v_mul_f32_e32 v117, v18, v117                              // 000000015E40: 0AEAEB12
	v_mul_f32_e32 v118, v18, v118                              // 000000015E44: 0AECED12
	v_mul_f32_e32 v119, v18, v119                              // 000000015E48: 0AEEEF12
	v_mul_f32_e32 v120, v18, v120                              // 000000015E4C: 0AF0F112
	v_mul_f32_e32 v121, v18, v121                              // 000000015E50: 0AF2F312
	v_mul_f32_e32 v122, v18, v122                              // 000000015E54: 0AF4F512
	v_mul_f32_e32 v123, v18, v123                              // 000000015E58: 0AF6F712
	v_mul_f32_e32 v124, v18, v124                              // 000000015E5C: 0AF8F912
	v_mul_f32_e32 v125, v18, v125                              // 000000015E60: 0AFAFB12
	v_mul_f32_e32 v126, v18, v126                              // 000000015E64: 0AFCFD12
	v_mul_f32_e32 v127, v18, v127                              // 000000015E68: 0AFEFF12
	buffer_load_dwordx4 a[48:51], v28, s[16:19], 0 offen       // 000000015E6C: E05C1000 8084301C
	v_mul_f32_dpp v112, v248, v112 quad_perm:[0,0,0,0] row_mask:0xf bank_mask:0xf// 000000015E74: 0AE0E0FA FF0000F8
	v_mul_f32_dpp v113, v248, v113 quad_perm:[1,1,1,1] row_mask:0xf bank_mask:0xf// 000000015E7C: 0AE2E2FA FF0055F8
	v_mul_f32_dpp v114, v248, v114 quad_perm:[2,2,2,2] row_mask:0xf bank_mask:0xf// 000000015E84: 0AE4E4FA FF00AAF8
	v_mul_f32_dpp v115, v248, v115 quad_perm:[3,3,3,3] row_mask:0xf bank_mask:0xf// 000000015E8C: 0AE6E6FA FF00FFF8
	v_mul_f32_dpp v116, v249, v116 quad_perm:[0,0,0,0] row_mask:0xf bank_mask:0xf// 000000015E94: 0AE8E8FA FF0000F9
	v_mul_f32_dpp v117, v249, v117 quad_perm:[1,1,1,1] row_mask:0xf bank_mask:0xf// 000000015E9C: 0AEAEAFA FF0055F9
	v_mul_f32_dpp v118, v249, v118 quad_perm:[2,2,2,2] row_mask:0xf bank_mask:0xf// 000000015EA4: 0AECECFA FF00AAF9
	v_mul_f32_dpp v119, v249, v119 quad_perm:[3,3,3,3] row_mask:0xf bank_mask:0xf// 000000015EAC: 0AEEEEFA FF00FFF9
	v_mul_f32_dpp v120, v250, v120 quad_perm:[0,0,0,0] row_mask:0xf bank_mask:0xf// 000000015EB4: 0AF0F0FA FF0000FA
	v_mul_f32_dpp v121, v250, v121 quad_perm:[1,1,1,1] row_mask:0xf bank_mask:0xf// 000000015EBC: 0AF2F2FA FF0055FA
	v_mul_f32_dpp v122, v250, v122 quad_perm:[2,2,2,2] row_mask:0xf bank_mask:0xf// 000000015EC4: 0AF4F4FA FF00AAFA
	v_mul_f32_dpp v123, v250, v123 quad_perm:[3,3,3,3] row_mask:0xf bank_mask:0xf// 000000015ECC: 0AF6F6FA FF00FFFA
	v_mul_f32_dpp v124, v251, v124 quad_perm:[0,0,0,0] row_mask:0xf bank_mask:0xf// 000000015ED4: 0AF8F8FA FF0000FB
	v_mul_f32_dpp v125, v251, v125 quad_perm:[1,1,1,1] row_mask:0xf bank_mask:0xf// 000000015EDC: 0AFAFAFA FF0055FB
	v_mul_f32_dpp v126, v251, v126 quad_perm:[2,2,2,2] row_mask:0xf bank_mask:0xf// 000000015EE4: 0AFCFCFA FF00AAFB
	v_mul_f32_dpp v127, v251, v127 quad_perm:[3,3,3,3] row_mask:0xf bank_mask:0xf// 000000015EEC: 0AFEFEFA FF00FFFB
	buffer_load_dwordx4 a[52:55], v28, s[16:19], 0 offen offset:1024// 000000015EF4: E05C1400 8084341C
	s_cmp_le_i32 s90, s89                                      // 000000015EFC: BF05595A
	s_cbranch_scc1 label_4FB2                                  // 000000015F00: BF850071
	v_mov_b32_e32 v66, 0xff800000                              // 000000015F04: 7E8402FF FF800000
	s_mov_b32 s60, s90                                         // 000000015F0C: BEBC005A
	s_add_u32 s61, s89, 0xff                                   // 000000015F10: 803DFF59 000000FF
	v_mov_b32_e32 v64, s61                                     // 000000015F18: 7E80023D
	v_lshrrev_b32_e32 v240, 4, v0                              // 000000015F1C: 21E00084
	v_mul_i32_i24_e32 v240, 4, v240                            // 000000015F20: 0DE1E084
	v_add_u32_e32 v240, s60, v240                              // 000000015F24: 69E1E03C
	s_mov_b32 s61, 0                                           // 000000015F28: BEBD0080
	s_mul_i32 s60, 16, s7                                      // 000000015F2C: 923C0790
	v_sub_u32_e64 v240, v240, s61                              // 000000015F30: D13500F0 00007BF0
	v_add_u32_e32 v240, s60, v240                              // 000000015F38: 69E1E03C
	v_add_u32_e32 v241, 1, v240                                // 000000015F3C: 69E3E081
	v_add_u32_e32 v242, 2, v240                                // 000000015F40: 69E5E082
	v_add_u32_e32 v243, 3, v240                                // 000000015F44: 69E7E083
	v_cmp_le_u32_e64 s[40:41], v240, v64                       // 000000015F48: D0CB0028 000281F0
	v_add_u32_e32 v240, 64, v240                               // 000000015F50: 69E1E0C0
	s_nop 0                                                    // 000000015F54: BF800000
	v_cndmask_b32_e64 v112, v66, v112, s[40:41]                // 000000015F58: D1000070 00A2E142
	v_cmp_le_u32_e64 s[40:41], v241, v64                       // 000000015F60: D0CB0028 000281F1
	v_add_u32_e32 v241, 64, v241                               // 000000015F68: 69E3E2C0
	s_nop 0                                                    // 000000015F6C: BF800000
	v_cndmask_b32_e64 v113, v66, v113, s[40:41]                // 000000015F70: D1000071 00A2E342
	v_cmp_le_u32_e64 s[40:41], v242, v64                       // 000000015F78: D0CB0028 000281F2
	v_add_u32_e32 v242, 64, v242                               // 000000015F80: 69E5E4C0
	s_nop 0                                                    // 000000015F84: BF800000
	v_cndmask_b32_e64 v114, v66, v114, s[40:41]                // 000000015F88: D1000072 00A2E542
	v_cmp_le_u32_e64 s[40:41], v243, v64                       // 000000015F90: D0CB0028 000281F3
	v_add_u32_e32 v243, 64, v243                               // 000000015F98: 69E7E6C0
	s_nop 0                                                    // 000000015F9C: BF800000
	v_cndmask_b32_e64 v115, v66, v115, s[40:41]                // 000000015FA0: D1000073 00A2E742
	v_cmp_le_u32_e64 s[40:41], v240, v64                       // 000000015FA8: D0CB0028 000281F0
	v_add_u32_e32 v240, 64, v240                               // 000000015FB0: 69E1E0C0
	s_nop 0                                                    // 000000015FB4: BF800000
	v_cndmask_b32_e64 v116, v66, v116, s[40:41]                // 000000015FB8: D1000074 00A2E942
	v_cmp_le_u32_e64 s[40:41], v241, v64                       // 000000015FC0: D0CB0028 000281F1
	v_add_u32_e32 v241, 64, v241                               // 000000015FC8: 69E3E2C0
	s_nop 0                                                    // 000000015FCC: BF800000
	v_cndmask_b32_e64 v117, v66, v117, s[40:41]                // 000000015FD0: D1000075 00A2EB42
	v_cmp_le_u32_e64 s[40:41], v242, v64                       // 000000015FD8: D0CB0028 000281F2
	v_add_u32_e32 v242, 64, v242                               // 000000015FE0: 69E5E4C0
	s_nop 0                                                    // 000000015FE4: BF800000
	v_cndmask_b32_e64 v118, v66, v118, s[40:41]                // 000000015FE8: D1000076 00A2ED42
	v_cmp_le_u32_e64 s[40:41], v243, v64                       // 000000015FF0: D0CB0028 000281F3
	v_add_u32_e32 v243, 64, v243                               // 000000015FF8: 69E7E6C0
	s_nop 0                                                    // 000000015FFC: BF800000
	v_cndmask_b32_e64 v119, v66, v119, s[40:41]                // 000000016000: D1000077 00A2EF42
	v_cmp_le_u32_e64 s[40:41], v240, v64                       // 000000016008: D0CB0028 000281F0
	v_add_u32_e32 v240, 64, v240                               // 000000016010: 69E1E0C0
	s_nop 0                                                    // 000000016014: BF800000
	v_cndmask_b32_e64 v120, v66, v120, s[40:41]                // 000000016018: D1000078 00A2F142
	v_cmp_le_u32_e64 s[40:41], v241, v64                       // 000000016020: D0CB0028 000281F1
	v_add_u32_e32 v241, 64, v241                               // 000000016028: 69E3E2C0
	s_nop 0                                                    // 00000001602C: BF800000
	v_cndmask_b32_e64 v121, v66, v121, s[40:41]                // 000000016030: D1000079 00A2F342
	v_cmp_le_u32_e64 s[40:41], v242, v64                       // 000000016038: D0CB0028 000281F2
	v_add_u32_e32 v242, 64, v242                               // 000000016040: 69E5E4C0
	s_nop 0                                                    // 000000016044: BF800000
	v_cndmask_b32_e64 v122, v66, v122, s[40:41]                // 000000016048: D100007A 00A2F542
	v_cmp_le_u32_e64 s[40:41], v243, v64                       // 000000016050: D0CB0028 000281F3
	v_add_u32_e32 v243, 64, v243                               // 000000016058: 69E7E6C0
	s_nop 0                                                    // 00000001605C: BF800000
	v_cndmask_b32_e64 v123, v66, v123, s[40:41]                // 000000016060: D100007B 00A2F742
	v_cmp_le_u32_e64 s[40:41], v240, v64                       // 000000016068: D0CB0028 000281F0
	v_add_u32_e32 v240, 64, v240                               // 000000016070: 69E1E0C0
	s_nop 0                                                    // 000000016074: BF800000
	v_cndmask_b32_e64 v124, v66, v124, s[40:41]                // 000000016078: D100007C 00A2F942
	v_cmp_le_u32_e64 s[40:41], v241, v64                       // 000000016080: D0CB0028 000281F1
	v_add_u32_e32 v241, 64, v241                               // 000000016088: 69E3E2C0
	s_nop 0                                                    // 00000001608C: BF800000
	v_cndmask_b32_e64 v125, v66, v125, s[40:41]                // 000000016090: D100007D 00A2FB42
	v_cmp_le_u32_e64 s[40:41], v242, v64                       // 000000016098: D0CB0028 000281F2
	v_add_u32_e32 v242, 64, v242                               // 0000000160A0: 69E5E4C0
	s_nop 0                                                    // 0000000160A4: BF800000
	v_cndmask_b32_e64 v126, v66, v126, s[40:41]                // 0000000160A8: D100007E 00A2FD42
	v_cmp_le_u32_e64 s[40:41], v243, v64                       // 0000000160B0: D0CB0028 000281F3
	v_add_u32_e32 v243, 64, v243                               // 0000000160B8: 69E7E6C0
	s_nop 0                                                    // 0000000160BC: BF800000
	v_cndmask_b32_e64 v127, v66, v127, s[40:41]                // 0000000160C0: D100007F 00A2FF42

00000000000160c8 <label_4FB2>:
	v_mov_b32_e32 v48, v112                                    // 0000000160C8: 7E600370
	v_max3_f32 v48, v112, v113, v48                            // 0000000160CC: D1D30030 04C2E370
	v_max3_f32 v48, v114, v115, v48                            // 0000000160D4: D1D30030 04C2E772
	v_max3_f32 v48, v116, v117, v48                            // 0000000160DC: D1D30030 04C2EB74
	v_max3_f32 v48, v118, v119, v48                            // 0000000160E4: D1D30030 04C2EF76
	v_max3_f32 v48, v120, v121, v48                            // 0000000160EC: D1D30030 04C2F378
	v_max3_f32 v48, v122, v123, v48                            // 0000000160F4: D1D30030 04C2F77A
	v_max3_f32 v48, v124, v125, v48                            // 0000000160FC: D1D30030 04C2FB7C
	v_max3_f32 v48, v126, v127, v48                            // 000000016104: D1D30030 04C2FF7E
	ds_write_b32 v8, v48 offset:16896                          // 00000001610C: D81A4200 00003008
	buffer_load_dwordx4 a[56:59], v29, s[16:19], 0 offen       // 000000016114: E05C1000 8084381D
	v_mul_u32_u24_dpp v64, v17, v54 row_newbcast:1 row_mask:0xf bank_mask:0xf// 00000001611C: 10806CFA FF015111
	v_mul_u32_u24_dpp v65, v17, v54 row_newbcast:5 row_mask:0xf bank_mask:0xf// 000000016124: 10826CFA FF015511
	v_mul_u32_u24_dpp v66, v17, v54 row_newbcast:9 row_mask:0xf bank_mask:0xf// 00000001612C: 10846CFA FF015911
	v_mul_u32_u24_dpp v67, v17, v54 row_newbcast:13 row_mask:0xf bank_mask:0xf// 000000016134: 10866CFA FF015D11
	v_add_u32_e32 v34, v64, v6                                 // 00000001613C: 68440D40
	v_add_u32_e32 v35, v65, v6                                 // 000000016140: 68460D41
	v_add_u32_e32 v36, v66, v6                                 // 000000016144: 68480D42
	v_add_u32_e32 v37, v67, v6                                 // 000000016148: 684A0D43
	v_mul_f32_e32 v208, v49, v208                              // 00000001614C: 0BA1A131
	v_mul_f32_e32 v209, v49, v209                              // 000000016150: 0BA3A331
	v_mul_f32_e32 v210, v49, v210                              // 000000016154: 0BA5A531
	v_mul_f32_e32 v211, v49, v211                              // 000000016158: 0BA7A731
	v_mul_f32_e32 v212, v49, v212                              // 00000001615C: 0BA9A931
	v_mul_f32_e32 v213, v49, v213                              // 000000016160: 0BABAB31
	v_mul_f32_e32 v214, v49, v214                              // 000000016164: 0BADAD31
	v_mul_f32_e32 v215, v49, v215                              // 000000016168: 0BAFAF31
	s_waitcnt lgkmcnt(0)                                       // 00000001616C: BF8CC07F
	s_barrier                                                  // 000000016170: BF8A0000
	ds_read_b32 v64, v7 offset:16896                           // 000000016174: D86C4200 40000007
	ds_read_b32 v65, v7 offset:16960                           // 00000001617C: D86C4240 41000007
	ds_read_b32 v66, v7 offset:17024                           // 000000016184: D86C4280 42000007
	ds_read_b32 v67, v7 offset:17088                           // 00000001618C: D86C42C0 43000007
	ds_read_b32 v68, v7 offset:17152                           // 000000016194: D86C4300 44000007
	ds_read_b32 v69, v7 offset:17216                           // 00000001619C: D86C4340 45000007
	ds_read_b32 v70, v7 offset:17280                           // 0000000161A4: D86C4380 46000007
	ds_read_b32 v71, v7 offset:17344                           // 0000000161AC: D86C43C0 47000007
	ds_read_b32 v72, v7 offset:17408                           // 0000000161B4: D86C4400 48000007
	ds_read_b32 v73, v7 offset:17472                           // 0000000161BC: D86C4440 49000007
	ds_read_b32 v74, v7 offset:17536                           // 0000000161C4: D86C4480 4A000007
	ds_read_b32 v75, v7 offset:17600                           // 0000000161CC: D86C44C0 4B000007
	ds_read_b32 v76, v7 offset:17664                           // 0000000161D4: D86C4500 4C000007
	ds_read_b32 v77, v7 offset:17728                           // 0000000161DC: D86C4540 4D000007
	ds_read_b32 v78, v7 offset:17792                           // 0000000161E4: D86C4580 4E000007
	ds_read_b32 v79, v7 offset:17856                           // 0000000161EC: D86C45C0 4F000007
	buffer_load_dwordx4 a[60:63], v29, s[16:19], 0 offen offset:1024// 0000000161F4: E05C1400 80843C1D
	v_cvt_f32_i32_e32 v176, v176                               // 0000000161FC: 7F600BB0
	v_cvt_f32_i32_e32 v177, v177                               // 000000016200: 7F620BB1
	v_cvt_f32_i32_e32 v178, v178                               // 000000016204: 7F640BB2
	v_cvt_f32_i32_e32 v179, v179                               // 000000016208: 7F660BB3
	v_cvt_f32_i32_e32 v180, v180                               // 00000001620C: 7F680BB4
	v_cvt_f32_i32_e32 v181, v181                               // 000000016210: 7F6A0BB5
	v_cvt_f32_i32_e32 v182, v182                               // 000000016214: 7F6C0BB6
	v_cvt_f32_i32_e32 v183, v183                               // 000000016218: 7F6E0BB7
	v_mul_f32_e32 v176, v44, v176                              // 00000001621C: 0B61612C
	v_mul_f32_e32 v177, v44, v177                              // 000000016220: 0B63632C
	v_mul_f32_e32 v178, v44, v178                              // 000000016224: 0B65652C
	v_mul_f32_e32 v179, v44, v179                              // 000000016228: 0B67672C
	v_mul_f32_e32 v180, v44, v180                              // 00000001622C: 0B69692C
	v_mul_f32_e32 v181, v44, v181                              // 000000016230: 0B6B6B2C
	v_mul_f32_e32 v182, v44, v182                              // 000000016234: 0B6D6D2C
	v_mul_f32_e32 v183, v44, v183                              // 000000016238: 0B6F6F2C
	s_waitcnt lgkmcnt(0)                                       // 00000001623C: BF8CC07F
	v_max3_f32 v48, v64, v65, v48                              // 000000016240: D1D30030 04C28340
	v_max3_f32 v48, v66, v67, v48                              // 000000016248: D1D30030 04C28742
	v_max3_f32 v48, v68, v69, v48                              // 000000016250: D1D30030 04C28B44
	v_max3_f32 v48, v70, v71, v48                              // 000000016258: D1D30030 04C28F46
	v_max3_f32 v48, v72, v73, v48                              // 000000016260: D1D30030 04C29348
	v_max3_f32 v48, v74, v75, v48                              // 000000016268: D1D30030 04C2974A
	v_max3_f32 v48, v76, v77, v48                              // 000000016270: D1D30030 04C29B4C
	v_max3_f32 v48, v78, v79, v48                              // 000000016278: D1D30030 04C29F4E
	buffer_load_dwordx4 a[96:99], v34, s[20:23], 0 offen       // 000000016280: E05C1000 80856022
	v_mov_b32_e32 v64, 0xff800000                              // 000000016288: 7E8002FF FF800000
	v_cmp_eq_u32_e64 s[40:41], v64, v11                        // 000000016290: D0CA0028 00021740
	s_nop 1                                                    // 000000016298: BF800001
	v_max_f32_e32 v15, v48, v11                                // 00000001629C: 161E1730
	v_mul_f32_e32 v53, s64, v15                                // 0000000162A0: 0A6A1E40
	v_fma_f32 v112, v112, s64, -v53                            // 0000000162A4: D1CB0070 84D48170
	v_fma_f32 v113, v113, s64, -v53                            // 0000000162AC: D1CB0071 84D48171
	v_fma_f32 v114, v114, s64, -v53                            // 0000000162B4: D1CB0072 84D48172
	v_fma_f32 v115, v115, s64, -v53                            // 0000000162BC: D1CB0073 84D48173
	v_fma_f32 v116, v116, s64, -v53                            // 0000000162C4: D1CB0074 84D48174
	v_fma_f32 v117, v117, s64, -v53                            // 0000000162CC: D1CB0075 84D48175
	v_fma_f32 v118, v118, s64, -v53                            // 0000000162D4: D1CB0076 84D48176
	v_fma_f32 v119, v119, s64, -v53                            // 0000000162DC: D1CB0077 84D48177
	v_fma_f32 v120, v120, s64, -v53                            // 0000000162E4: D1CB0078 84D48178
	v_fma_f32 v121, v121, s64, -v53                            // 0000000162EC: D1CB0079 84D48179
	v_fma_f32 v122, v122, s64, -v53                            // 0000000162F4: D1CB007A 84D4817A
	v_fma_f32 v123, v123, s64, -v53                            // 0000000162FC: D1CB007B 84D4817B
	v_fma_f32 v124, v124, s64, -v53                            // 000000016304: D1CB007C 84D4817C
	v_fma_f32 v125, v125, s64, -v53                            // 00000001630C: D1CB007D 84D4817D
	v_fma_f32 v126, v126, s64, -v53                            // 000000016314: D1CB007E 84D4817E
	v_fma_f32 v127, v127, s64, -v53                            // 00000001631C: D1CB007F 84D4817F
	buffer_load_dwordx4 a[100:103], v35, s[20:23], 0 offen     // 000000016324: E05C1000 80856423
	v_exp_f32_e32 v112, v112                                   // 00000001632C: 7EE04170
	v_exp_f32_e32 v113, v113                                   // 000000016330: 7EE24171
	v_exp_f32_e32 v114, v114                                   // 000000016334: 7EE44172
	v_exp_f32_e32 v115, v115                                   // 000000016338: 7EE64173
	v_exp_f32_e32 v116, v116                                   // 00000001633C: 7EE84174
	v_exp_f32_e32 v117, v117                                   // 000000016340: 7EEA4175
	v_exp_f32_e32 v118, v118                                   // 000000016344: 7EEC4176
	v_exp_f32_e32 v119, v119                                   // 000000016348: 7EEE4177
	v_exp_f32_e32 v120, v120                                   // 00000001634C: 7EF04178
	v_exp_f32_e32 v121, v121                                   // 000000016350: 7EF24179
	v_exp_f32_e32 v122, v122                                   // 000000016354: 7EF4417A
	v_exp_f32_e32 v123, v123                                   // 000000016358: 7EF6417B
	v_exp_f32_e32 v124, v124                                   // 00000001635C: 7EF8417C
	v_exp_f32_e32 v125, v125                                   // 000000016360: 7EFA417D
	v_exp_f32_e32 v126, v126                                   // 000000016364: 7EFC417E
	v_exp_f32_e32 v127, v127                                   // 000000016368: 7EFE417F
	buffer_load_dwordx4 a[104:107], v36, s[20:23], 0 offen     // 00000001636C: E05C1000 80856824
	v_mul_f32_dpp v240, v252, v112 quad_perm:[0,0,0,0] row_mask:0xf bank_mask:0xf// 000000016374: 0BE0E0FA FF0000FC
	v_mul_f32_dpp v241, v252, v113 quad_perm:[1,1,1,1] row_mask:0xf bank_mask:0xf// 00000001637C: 0BE2E2FA FF0055FC
	v_mul_f32_dpp v242, v252, v114 quad_perm:[2,2,2,2] row_mask:0xf bank_mask:0xf// 000000016384: 0BE4E4FA FF00AAFC
	v_mul_f32_dpp v243, v252, v115 quad_perm:[3,3,3,3] row_mask:0xf bank_mask:0xf// 00000001638C: 0BE6E6FA FF00FFFC
	v_mul_f32_dpp v244, v253, v116 quad_perm:[0,0,0,0] row_mask:0xf bank_mask:0xf// 000000016394: 0BE8E8FA FF0000FD
	v_mul_f32_dpp v245, v253, v117 quad_perm:[1,1,1,1] row_mask:0xf bank_mask:0xf// 00000001639C: 0BEAEAFA FF0055FD
	v_mul_f32_dpp v246, v253, v118 quad_perm:[2,2,2,2] row_mask:0xf bank_mask:0xf// 0000000163A4: 0BECECFA FF00AAFD
	v_mul_f32_dpp v247, v253, v119 quad_perm:[3,3,3,3] row_mask:0xf bank_mask:0xf// 0000000163AC: 0BEEEEFA FF00FFFD
	v_mul_f32_dpp v248, v254, v120 quad_perm:[0,0,0,0] row_mask:0xf bank_mask:0xf// 0000000163B4: 0BF0F0FA FF0000FE
	v_mul_f32_dpp v249, v254, v121 quad_perm:[1,1,1,1] row_mask:0xf bank_mask:0xf// 0000000163BC: 0BF2F2FA FF0055FE
	v_mul_f32_dpp v250, v254, v122 quad_perm:[2,2,2,2] row_mask:0xf bank_mask:0xf// 0000000163C4: 0BF4F4FA FF00AAFE
	v_mul_f32_dpp v251, v254, v123 quad_perm:[3,3,3,3] row_mask:0xf bank_mask:0xf// 0000000163CC: 0BF6F6FA FF00FFFE
	v_mul_f32_dpp v252, v255, v124 quad_perm:[0,0,0,0] row_mask:0xf bank_mask:0xf// 0000000163D4: 0BF8F8FA FF0000FF
	v_mul_f32_dpp v253, v255, v125 quad_perm:[1,1,1,1] row_mask:0xf bank_mask:0xf// 0000000163DC: 0BFAFAFA FF0055FF
	v_mul_f32_dpp v254, v255, v126 quad_perm:[2,2,2,2] row_mask:0xf bank_mask:0xf// 0000000163E4: 0BFCFCFA FF00AAFF
	v_mul_f32_dpp v255, v255, v127 quad_perm:[3,3,3,3] row_mask:0xf bank_mask:0xf// 0000000163EC: 0BFEFEFA FF00FFFF
	v_mov_b32_e32 v48, 0x358637bd                              // 0000000163F4: 7E6002FF 358637BD
	v_max3_f32 v48, |v240|, |v241|, v48                        // 0000000163FC: D1D30330 04C3E3F0
	v_max3_f32 v48, |v242|, |v243|, v48                        // 000000016404: D1D30330 04C3E7F2
	v_max3_f32 v48, |v244|, |v245|, v48                        // 00000001640C: D1D30330 04C3EBF4
	v_max3_f32 v48, |v246|, |v247|, v48                        // 000000016414: D1D30330 04C3EFF6
	v_max3_f32 v48, |v248|, |v249|, v48                        // 00000001641C: D1D30330 04C3F3F8
	v_max3_f32 v48, |v250|, |v251|, v48                        // 000000016424: D1D30330 04C3F7FA
	v_max3_f32 v48, |v252|, |v253|, v48                        // 00000001642C: D1D30330 04C3FBFC
	v_max3_f32 v48, |v254|, |v255|, v48                        // 000000016434: D1D30330 04C3FFFE
	buffer_load_dwordx4 a[108:111], v37, s[20:23], 0 offen     // 00000001643C: E05C1000 80856C25
	ds_write_b32 v8, v48 offset:20992                          // 000000016444: D81A5200 00003008
	v_sub_f32_e32 v49, v11, v15                                // 00000001644C: 04621F0B
	v_cndmask_b32_e64 v49, v49, 0, s[40:41]                    // 000000016450: D1000031 00A10131
	v_mov_b32_e32 v11, v15                                     // 000000016458: 7E16030F
	v_mul_f32_e32 v49, s64, v49                                // 00000001645C: 0A626240
	v_exp_f32_e32 v49, v49                                     // 000000016460: 7E624131
	s_waitcnt lgkmcnt(0)                                       // 000000016464: BF8CC07F
	s_barrier                                                  // 000000016468: BF8A0000
	ds_read_b32 v64, v7 offset:20992                           // 00000001646C: D86C5200 40000007
	ds_read_b32 v65, v7 offset:21056                           // 000000016474: D86C5240 41000007
	ds_read_b32 v66, v7 offset:21120                           // 00000001647C: D86C5280 42000007
	ds_read_b32 v67, v7 offset:21184                           // 000000016484: D86C52C0 43000007
	ds_read_b32 v68, v7 offset:21248                           // 00000001648C: D86C5300 44000007
	ds_read_b32 v69, v7 offset:21312                           // 000000016494: D86C5340 45000007
	ds_read_b32 v70, v7 offset:21376                           // 00000001649C: D86C5380 46000007
	ds_read_b32 v71, v7 offset:21440                           // 0000000164A4: D86C53C0 47000007
	ds_read_b32 v72, v7 offset:21504                           // 0000000164AC: D86C5400 48000007
	ds_read_b32 v73, v7 offset:21568                           // 0000000164B4: D86C5440 49000007
	ds_read_b32 v74, v7 offset:21632                           // 0000000164BC: D86C5480 4A000007
	ds_read_b32 v75, v7 offset:21696                           // 0000000164C4: D86C54C0 4B000007
	ds_read_b32 v76, v7 offset:21760                           // 0000000164CC: D86C5500 4C000007
	ds_read_b32 v77, v7 offset:21824                           // 0000000164D4: D86C5540 4D000007
	ds_read_b32 v78, v7 offset:21888                           // 0000000164DC: D86C5580 4E000007
	ds_read_b32 v79, v7 offset:21952                           // 0000000164E4: D86C55C0 4F000007
	v_mul_f32_e32 v38, v49, v38                                // 0000000164EC: 0A4C4D31
	v_mov_b32_e32 v15, v112                                    // 0000000164F0: 7E1E0370
	v_add_f32_e32 v15, v113, v15                               // 0000000164F4: 021E1F71
	v_add_f32_e32 v15, v114, v15                               // 0000000164F8: 021E1F72
	v_add_f32_e32 v15, v115, v15                               // 0000000164FC: 021E1F73
	v_add_f32_e32 v15, v116, v15                               // 000000016500: 021E1F74
	v_add_f32_e32 v15, v117, v15                               // 000000016504: 021E1F75
	v_add_f32_e32 v15, v118, v15                               // 000000016508: 021E1F76
	v_add_f32_e32 v15, v119, v15                               // 00000001650C: 021E1F77
	v_add_f32_e32 v15, v120, v15                               // 000000016510: 021E1F78
	v_add_f32_e32 v15, v121, v15                               // 000000016514: 021E1F79
	v_add_f32_e32 v15, v122, v15                               // 000000016518: 021E1F7A
	v_add_f32_e32 v15, v123, v15                               // 00000001651C: 021E1F7B
	v_add_f32_e32 v15, v124, v15                               // 000000016520: 021E1F7C
	v_add_f32_e32 v15, v125, v15                               // 000000016524: 021E1F7D
	v_add_f32_e32 v15, v126, v15                               // 000000016528: 021E1F7E
	v_add_f32_e32 v15, v127, v15                               // 00000001652C: 021E1F7F
	v_add_f32_e32 v38, v15, v38                                // 000000016530: 024C4D0F
	s_waitcnt lgkmcnt(0)                                       // 000000016534: BF8CC07F
	v_max3_f32 v48, |v64|, |v65|, v48                          // 000000016538: D1D30330 04C28340
	v_max3_f32 v48, |v66|, |v67|, v48                          // 000000016540: D1D30330 04C28742
	v_max3_f32 v48, |v68|, |v69|, v48                          // 000000016548: D1D30330 04C28B44
	v_max3_f32 v48, |v70|, |v71|, v48                          // 000000016550: D1D30330 04C28F46
	v_max3_f32 v48, |v72|, |v73|, v48                          // 000000016558: D1D30330 04C29348
	v_max3_f32 v48, |v74|, |v75|, v48                          // 000000016560: D1D30330 04C2974A
	v_max3_f32 v48, |v76|, |v77|, v48                          // 000000016568: D1D30330 04C29B4C
	v_max3_f32 v48, |v78|, |v79|, v48                          // 000000016570: D1D30330 04C29F4E
	s_nop 2                                                    // 000000016578: BF800002
	v_rcp_f32_e32 v48, v48                                     // 00000001657C: 7E604530
	s_nop 1                                                    // 000000016580: BF800001
	v_mul_f32_e32 v48, 0x42fe0000, v48                         // 000000016584: 0A6060FF 42FE0000
	v_mul_f32_e32 v112, v48, v240                              // 00000001658C: 0AE1E130
	v_mul_f32_e32 v113, v48, v241                              // 000000016590: 0AE3E330
	v_mul_f32_e32 v114, v48, v242                              // 000000016594: 0AE5E530
	v_mul_f32_e32 v115, v48, v243                              // 000000016598: 0AE7E730
	v_mul_f32_e32 v116, v48, v244                              // 00000001659C: 0AE9E930
	v_mul_f32_e32 v117, v48, v245                              // 0000000165A0: 0AEBEB30
	v_mul_f32_e32 v118, v48, v246                              // 0000000165A4: 0AEDED30
	v_mul_f32_e32 v119, v48, v247                              // 0000000165A8: 0AEFEF30
	v_mul_f32_e32 v120, v48, v248                              // 0000000165AC: 0AF1F130
	v_mul_f32_e32 v121, v48, v249                              // 0000000165B0: 0AF3F330
	v_mul_f32_e32 v122, v48, v250                              // 0000000165B4: 0AF5F530
	v_mul_f32_e32 v123, v48, v251                              // 0000000165B8: 0AF7F730
	v_mul_f32_e32 v124, v48, v252                              // 0000000165BC: 0AF9F930
	v_mul_f32_e32 v125, v48, v253                              // 0000000165C0: 0AFBFB30
	v_mul_f32_e32 v126, v48, v254                              // 0000000165C4: 0AFDFD30
	v_mul_f32_e32 v127, v48, v255                              // 0000000165C8: 0AFFFF30
	v_cvt_i32_f32_e32 v112, v112                               // 0000000165CC: 7EE01170
	v_cvt_i32_f32_e32 v113, v113                               // 0000000165D0: 7EE21171
	v_cvt_i32_f32_e32 v114, v114                               // 0000000165D4: 7EE41172
	v_cvt_i32_f32_e32 v115, v115                               // 0000000165D8: 7EE61173
	v_cvt_i32_f32_e32 v116, v116                               // 0000000165DC: 7EE81174
	v_cvt_i32_f32_e32 v117, v117                               // 0000000165E0: 7EEA1175
	v_cvt_i32_f32_e32 v118, v118                               // 0000000165E4: 7EEC1176
	v_cvt_i32_f32_e32 v119, v119                               // 0000000165E8: 7EEE1177
	v_cvt_i32_f32_e32 v120, v120                               // 0000000165EC: 7EF01178
	v_cvt_i32_f32_e32 v121, v121                               // 0000000165F0: 7EF21179
	v_cvt_i32_f32_e32 v122, v122                               // 0000000165F4: 7EF4117A
	v_cvt_i32_f32_e32 v123, v123                               // 0000000165F8: 7EF6117B
	v_cvt_i32_f32_e32 v124, v124                               // 0000000165FC: 7EF8117C
	v_cvt_i32_f32_e32 v125, v125                               // 000000016600: 7EFA117D
	v_cvt_i32_f32_e32 v126, v126                               // 000000016604: 7EFC117E
	v_cvt_i32_f32_e32 v127, v127                               // 000000016608: 7EFE117F
	v_perm_b32 v112, v113, v112, s53                           // 00000001660C: D1ED0070 00D6E171
	v_perm_b32 v112, v114, v112, s54                           // 000000016614: D1ED0070 00DAE172
	v_perm_b32 v112, v115, v112, s55                           // 00000001661C: D1ED0070 00DEE173
	v_perm_b32 v113, v117, v116, s53                           // 000000016624: D1ED0071 00D6E975
	v_perm_b32 v113, v118, v113, s54                           // 00000001662C: D1ED0071 00DAE376
	v_perm_b32 v113, v119, v113, s55                           // 000000016634: D1ED0071 00DEE377
	v_perm_b32 v114, v121, v120, s53                           // 00000001663C: D1ED0072 00D6F179
	v_perm_b32 v114, v122, v114, s54                           // 000000016644: D1ED0072 00DAE57A
	v_perm_b32 v114, v123, v114, s55                           // 00000001664C: D1ED0072 00DEE57B
	v_perm_b32 v115, v125, v124, s53                           // 000000016654: D1ED0073 00D6F97D
	v_perm_b32 v115, v126, v115, s54                           // 00000001665C: D1ED0073 00DAE77E
	v_perm_b32 v115, v127, v115, s55                           // 000000016664: D1ED0073 00DEE77F
	ds_write_b32 v10, v112 offset:25088                        // 00000001666C: D81A6200 0000700A
	ds_write_b32 v10, v113 offset:26112                        // 000000016674: D81A6600 0000710A
	ds_write_b32 v10, v114 offset:27136                        // 00000001667C: D81A6A00 0000720A
	ds_write_b32 v10, v115 offset:28160                        // 000000016684: D81A6E00 0000730A
	v_add_f32_e32 v208, v208, v176                             // 00000001668C: 03A161D0
	v_add_f32_e32 v209, v209, v177                             // 000000016690: 03A363D1
	v_add_f32_e32 v210, v210, v178                             // 000000016694: 03A565D2
	v_add_f32_e32 v211, v211, v179                             // 000000016698: 03A767D3
	v_add_f32_e32 v212, v212, v180                             // 00000001669C: 03A969D4
	v_add_f32_e32 v213, v213, v181                             // 0000000166A0: 03AB6BD5
	v_add_f32_e32 v214, v214, v182                             // 0000000166A4: 03AD6DD6
	v_add_f32_e32 v215, v215, v183                             // 0000000166A8: 03AF6FD7
	v_rcp_f32_e32 v44, v48                                     // 0000000166AC: 7E584530
	s_waitcnt lgkmcnt(0)                                       // 0000000166B0: BF8CC07F
	s_barrier                                                  // 0000000166B4: BF8A0000
	ds_read_b64 v[112:113], v9 offset:25088                    // 0000000166B8: D8EC6200 70000009
	ds_read_b64 v[114:115], v9 offset:25216                    // 0000000166C0: D8EC6280 72000009
	ds_read_b64 v[116:117], v9 offset:26112                    // 0000000166C8: D8EC6600 74000009
	ds_read_b64 v[118:119], v9 offset:26240                    // 0000000166D0: D8EC6680 76000009
	ds_read_b64 v[120:121], v9 offset:27136                    // 0000000166D8: D8EC6A00 78000009
	ds_read_b64 v[122:123], v9 offset:27264                    // 0000000166E0: D8EC6A80 7A000009
	ds_read_b64 v[124:125], v9 offset:28160                    // 0000000166E8: D8EC6E00 7C000009
	ds_read_b64 v[126:127], v9 offset:28288                    // 0000000166F0: D8EC6E80 7E000009
	v_mov_b32_dpp v64, v42 row_shr:4 row_mask:0xf bank_mask:0xf// 0000000166F8: 7E8002FA FF01142A
	v_mov_b32_dpp v65, v42 row_shl:4 row_mask:0xf bank_mask:0xf// 000000016700: 7E8202FA FF01042A
	v_cndmask_b32_e64 v248, v42, v64, s[44:45]                 // 000000016708: D10000F8 00B2812A
	v_cndmask_b32_e64 v249, v65, v42, s[44:45]                 // 000000016710: D10000F9 00B25541
	v_mov_b32_dpp v64, v248 row_shr:8 row_mask:0xf bank_mask:0xf// 000000016718: 7E8002FA FF0118F8
	v_mov_b32_dpp v65, v248 row_shl:8 row_mask:0xf bank_mask:0xf// 000000016720: 7E8202FA FF0108F8
	v_mov_b32_dpp v66, v249 row_shr:8 row_mask:0xf bank_mask:0xf// 000000016728: 7E8402FA FF0118F9
	v_mov_b32_dpp v67, v249 row_shl:8 row_mask:0xf bank_mask:0xf// 000000016730: 7E8602FA FF0108F9
	v_mov_b32_e32 v68, v248                                    // 000000016738: 7E8803F8
	v_mov_b32_e32 v69, v249                                    // 00000001673C: 7E8A03F9
	v_cndmask_b32_e64 v248, v68, v64, s[42:43]                 // 000000016740: D10000F8 00AA8144
	v_cndmask_b32_e64 v250, v68, v65, s[78:79]                 // 000000016748: D10000FA 013A8344
	v_cndmask_b32_e64 v249, v69, v66, s[42:43]                 // 000000016750: D10000F9 00AA8545
	v_cndmask_b32_e64 v251, v69, v67, s[78:79]                 // 000000016758: D10000FB 013A8745
	v_mov_b32_dpp v64, v57 row_shr:4 row_mask:0xf bank_mask:0xf// 000000016760: 7E8002FA FF011439
	v_mov_b32_dpp v65, v57 row_shl:4 row_mask:0xf bank_mask:0xf// 000000016768: 7E8202FA FF010439
	v_cndmask_b32_e64 v252, v57, v64, s[44:45]                 // 000000016770: D10000FC 00B28139
	v_cndmask_b32_e64 v253, v65, v57, s[44:45]                 // 000000016778: D10000FD 00B27341
	v_mov_b32_dpp v64, v252 row_shr:8 row_mask:0xf bank_mask:0xf// 000000016780: 7E8002FA FF0118FC
	v_mov_b32_dpp v65, v252 row_shl:8 row_mask:0xf bank_mask:0xf// 000000016788: 7E8202FA FF0108FC
	v_mov_b32_dpp v66, v253 row_shr:8 row_mask:0xf bank_mask:0xf// 000000016790: 7E8402FA FF0118FD
	v_mov_b32_dpp v67, v253 row_shl:8 row_mask:0xf bank_mask:0xf// 000000016798: 7E8602FA FF0108FD
	v_mov_b32_e32 v68, v252                                    // 0000000167A0: 7E8803FC
	v_mov_b32_e32 v69, v253                                    // 0000000167A4: 7E8A03FD
	v_cndmask_b32_e64 v252, v68, v64, s[42:43]                 // 0000000167A8: D10000FC 00AA8144
	v_cndmask_b32_e64 v254, v68, v65, s[78:79]                 // 0000000167B0: D10000FE 013A8344
	v_cndmask_b32_e64 v253, v69, v66, s[42:43]                 // 0000000167B8: D10000FD 00AA8545
	v_cndmask_b32_e64 v255, v69, v67, s[78:79]                 // 0000000167C0: D10000FF 013A8745
	v_cvt_f32_i32_e32 v128, v128                               // 0000000167C8: 7F000B80
	v_cvt_f32_i32_e32 v129, v129                               // 0000000167CC: 7F020B81
	v_cvt_f32_i32_e32 v130, v130                               // 0000000167D0: 7F040B82
	v_cvt_f32_i32_e32 v131, v131                               // 0000000167D4: 7F060B83
	v_cvt_f32_i32_e32 v132, v132                               // 0000000167D8: 7F080B84
	v_cvt_f32_i32_e32 v133, v133                               // 0000000167DC: 7F0A0B85
	v_cvt_f32_i32_e32 v134, v134                               // 0000000167E0: 7F0C0B86
	v_cvt_f32_i32_e32 v135, v135                               // 0000000167E4: 7F0E0B87
	v_cvt_f32_i32_e32 v136, v136                               // 0000000167E8: 7F100B88
	v_cvt_f32_i32_e32 v137, v137                               // 0000000167EC: 7F120B89
	v_cvt_f32_i32_e32 v138, v138                               // 0000000167F0: 7F140B8A
	v_cvt_f32_i32_e32 v139, v139                               // 0000000167F4: 7F160B8B
	v_cvt_f32_i32_e32 v140, v140                               // 0000000167F8: 7F180B8C
	v_cvt_f32_i32_e32 v141, v141                               // 0000000167FC: 7F1A0B8D
	v_cvt_f32_i32_e32 v142, v142                               // 000000016800: 7F1C0B8E
	v_cvt_f32_i32_e32 v143, v143                               // 000000016804: 7F1E0B8F
	v_mul_f32_e32 v128, v19, v128                              // 000000016808: 0B010113
	v_mul_f32_e32 v129, v19, v129                              // 00000001680C: 0B030313
	v_mul_f32_e32 v130, v19, v130                              // 000000016810: 0B050513
	v_mul_f32_e32 v131, v19, v131                              // 000000016814: 0B070713
	v_mul_f32_e32 v132, v19, v132                              // 000000016818: 0B090913
	v_mul_f32_e32 v133, v19, v133                              // 00000001681C: 0B0B0B13
	v_mul_f32_e32 v134, v19, v134                              // 000000016820: 0B0D0D13
	v_mul_f32_e32 v135, v19, v135                              // 000000016824: 0B0F0F13
	v_mul_f32_e32 v136, v19, v136                              // 000000016828: 0B111113
	v_mul_f32_e32 v137, v19, v137                              // 00000001682C: 0B131313
	v_mul_f32_e32 v138, v19, v138                              // 000000016830: 0B151513
	v_mul_f32_e32 v139, v19, v139                              // 000000016834: 0B171713
	v_mul_f32_e32 v140, v19, v140                              // 000000016838: 0B191913
	v_mul_f32_e32 v141, v19, v141                              // 00000001683C: 0B1B1B13
	v_mul_f32_e32 v142, v19, v142                              // 000000016840: 0B1D1D13
	v_mul_f32_e32 v143, v19, v143                              // 000000016844: 0B1F1F13
	v_mul_f32_dpp v128, v248, v128 quad_perm:[0,0,0,0] row_mask:0xf bank_mask:0xf// 000000016848: 0B0100FA FF0000F8
	v_mul_f32_dpp v129, v248, v129 quad_perm:[1,1,1,1] row_mask:0xf bank_mask:0xf// 000000016850: 0B0302FA FF0055F8
	v_mul_f32_dpp v130, v248, v130 quad_perm:[2,2,2,2] row_mask:0xf bank_mask:0xf// 000000016858: 0B0504FA FF00AAF8
	v_mul_f32_dpp v131, v248, v131 quad_perm:[3,3,3,3] row_mask:0xf bank_mask:0xf// 000000016860: 0B0706FA FF00FFF8
	v_mul_f32_dpp v132, v249, v132 quad_perm:[0,0,0,0] row_mask:0xf bank_mask:0xf// 000000016868: 0B0908FA FF0000F9
	v_mul_f32_dpp v133, v249, v133 quad_perm:[1,1,1,1] row_mask:0xf bank_mask:0xf// 000000016870: 0B0B0AFA FF0055F9
	v_mul_f32_dpp v134, v249, v134 quad_perm:[2,2,2,2] row_mask:0xf bank_mask:0xf// 000000016878: 0B0D0CFA FF00AAF9
	v_mul_f32_dpp v135, v249, v135 quad_perm:[3,3,3,3] row_mask:0xf bank_mask:0xf// 000000016880: 0B0F0EFA FF00FFF9
	v_mul_f32_dpp v136, v250, v136 quad_perm:[0,0,0,0] row_mask:0xf bank_mask:0xf// 000000016888: 0B1110FA FF0000FA
	v_mul_f32_dpp v137, v250, v137 quad_perm:[1,1,1,1] row_mask:0xf bank_mask:0xf// 000000016890: 0B1312FA FF0055FA
	v_mul_f32_dpp v138, v250, v138 quad_perm:[2,2,2,2] row_mask:0xf bank_mask:0xf// 000000016898: 0B1514FA FF00AAFA
	v_mul_f32_dpp v139, v250, v139 quad_perm:[3,3,3,3] row_mask:0xf bank_mask:0xf// 0000000168A0: 0B1716FA FF00FFFA
	v_mul_f32_dpp v140, v251, v140 quad_perm:[0,0,0,0] row_mask:0xf bank_mask:0xf// 0000000168A8: 0B1918FA FF0000FB
	v_mul_f32_dpp v141, v251, v141 quad_perm:[1,1,1,1] row_mask:0xf bank_mask:0xf// 0000000168B0: 0B1B1AFA FF0055FB
	v_mul_f32_dpp v142, v251, v142 quad_perm:[2,2,2,2] row_mask:0xf bank_mask:0xf// 0000000168B8: 0B1D1CFA FF00AAFB
	v_mul_f32_dpp v143, v251, v143 quad_perm:[3,3,3,3] row_mask:0xf bank_mask:0xf// 0000000168C0: 0B1F1EFA FF00FFFB
	s_cmp_le_i32 s90, s89                                      // 0000000168C8: BF05595A
	s_cbranch_scc1 label_5225                                  // 0000000168CC: BF850071
	v_mov_b32_e32 v66, 0xff800000                              // 0000000168D0: 7E8402FF FF800000
	s_mov_b32 s60, s90                                         // 0000000168D8: BEBC005A
	s_add_u32 s61, s89, 0xff                                   // 0000000168DC: 803DFF59 000000FF
	v_mov_b32_e32 v64, s61                                     // 0000000168E4: 7E80023D
	v_lshrrev_b32_e32 v240, 4, v0                              // 0000000168E8: 21E00084
	v_mul_i32_i24_e32 v240, 4, v240                            // 0000000168EC: 0DE1E084
	v_add_u32_e32 v240, s60, v240                              // 0000000168F0: 69E1E03C
	s_mov_b32 s61, 1                                           // 0000000168F4: BEBD0081
	s_mul_i32 s60, 16, s7                                      // 0000000168F8: 923C0790
	v_sub_u32_e64 v240, v240, s61                              // 0000000168FC: D13500F0 00007BF0
	v_add_u32_e32 v240, s60, v240                              // 000000016904: 69E1E03C
	v_add_u32_e32 v241, 1, v240                                // 000000016908: 69E3E081
	v_add_u32_e32 v242, 2, v240                                // 00000001690C: 69E5E082
	v_add_u32_e32 v243, 3, v240                                // 000000016910: 69E7E083
	v_cmp_le_u32_e64 s[40:41], v240, v64                       // 000000016914: D0CB0028 000281F0
	v_add_u32_e32 v240, 64, v240                               // 00000001691C: 69E1E0C0
	s_nop 0                                                    // 000000016920: BF800000
	v_cndmask_b32_e64 v128, v66, v128, s[40:41]                // 000000016924: D1000080 00A30142
	v_cmp_le_u32_e64 s[40:41], v241, v64                       // 00000001692C: D0CB0028 000281F1
	v_add_u32_e32 v241, 64, v241                               // 000000016934: 69E3E2C0
	s_nop 0                                                    // 000000016938: BF800000
	v_cndmask_b32_e64 v129, v66, v129, s[40:41]                // 00000001693C: D1000081 00A30342
	v_cmp_le_u32_e64 s[40:41], v242, v64                       // 000000016944: D0CB0028 000281F2
	v_add_u32_e32 v242, 64, v242                               // 00000001694C: 69E5E4C0
	s_nop 0                                                    // 000000016950: BF800000
	v_cndmask_b32_e64 v130, v66, v130, s[40:41]                // 000000016954: D1000082 00A30542
	v_cmp_le_u32_e64 s[40:41], v243, v64                       // 00000001695C: D0CB0028 000281F3
	v_add_u32_e32 v243, 64, v243                               // 000000016964: 69E7E6C0
	s_nop 0                                                    // 000000016968: BF800000
	v_cndmask_b32_e64 v131, v66, v131, s[40:41]                // 00000001696C: D1000083 00A30742
	v_cmp_le_u32_e64 s[40:41], v240, v64                       // 000000016974: D0CB0028 000281F0
	v_add_u32_e32 v240, 64, v240                               // 00000001697C: 69E1E0C0
	s_nop 0                                                    // 000000016980: BF800000
	v_cndmask_b32_e64 v132, v66, v132, s[40:41]                // 000000016984: D1000084 00A30942
	v_cmp_le_u32_e64 s[40:41], v241, v64                       // 00000001698C: D0CB0028 000281F1
	v_add_u32_e32 v241, 64, v241                               // 000000016994: 69E3E2C0
	s_nop 0                                                    // 000000016998: BF800000
	v_cndmask_b32_e64 v133, v66, v133, s[40:41]                // 00000001699C: D1000085 00A30B42
	v_cmp_le_u32_e64 s[40:41], v242, v64                       // 0000000169A4: D0CB0028 000281F2
	v_add_u32_e32 v242, 64, v242                               // 0000000169AC: 69E5E4C0
	s_nop 0                                                    // 0000000169B0: BF800000
	v_cndmask_b32_e64 v134, v66, v134, s[40:41]                // 0000000169B4: D1000086 00A30D42
	v_cmp_le_u32_e64 s[40:41], v243, v64                       // 0000000169BC: D0CB0028 000281F3
	v_add_u32_e32 v243, 64, v243                               // 0000000169C4: 69E7E6C0
	s_nop 0                                                    // 0000000169C8: BF800000
	v_cndmask_b32_e64 v135, v66, v135, s[40:41]                // 0000000169CC: D1000087 00A30F42
	v_cmp_le_u32_e64 s[40:41], v240, v64                       // 0000000169D4: D0CB0028 000281F0
	v_add_u32_e32 v240, 64, v240                               // 0000000169DC: 69E1E0C0
	s_nop 0                                                    // 0000000169E0: BF800000
	v_cndmask_b32_e64 v136, v66, v136, s[40:41]                // 0000000169E4: D1000088 00A31142
	v_cmp_le_u32_e64 s[40:41], v241, v64                       // 0000000169EC: D0CB0028 000281F1
	v_add_u32_e32 v241, 64, v241                               // 0000000169F4: 69E3E2C0
	s_nop 0                                                    // 0000000169F8: BF800000
	v_cndmask_b32_e64 v137, v66, v137, s[40:41]                // 0000000169FC: D1000089 00A31342
	v_cmp_le_u32_e64 s[40:41], v242, v64                       // 000000016A04: D0CB0028 000281F2
	v_add_u32_e32 v242, 64, v242                               // 000000016A0C: 69E5E4C0
	s_nop 0                                                    // 000000016A10: BF800000
	v_cndmask_b32_e64 v138, v66, v138, s[40:41]                // 000000016A14: D100008A 00A31542
	v_cmp_le_u32_e64 s[40:41], v243, v64                       // 000000016A1C: D0CB0028 000281F3
	v_add_u32_e32 v243, 64, v243                               // 000000016A24: 69E7E6C0
	s_nop 0                                                    // 000000016A28: BF800000
	v_cndmask_b32_e64 v139, v66, v139, s[40:41]                // 000000016A2C: D100008B 00A31742
	v_cmp_le_u32_e64 s[40:41], v240, v64                       // 000000016A34: D0CB0028 000281F0
	v_add_u32_e32 v240, 64, v240                               // 000000016A3C: 69E1E0C0
	s_nop 0                                                    // 000000016A40: BF800000
	v_cndmask_b32_e64 v140, v66, v140, s[40:41]                // 000000016A44: D100008C 00A31942
	v_cmp_le_u32_e64 s[40:41], v241, v64                       // 000000016A4C: D0CB0028 000281F1
	v_add_u32_e32 v241, 64, v241                               // 000000016A54: 69E3E2C0
	s_nop 0                                                    // 000000016A58: BF800000
	v_cndmask_b32_e64 v141, v66, v141, s[40:41]                // 000000016A5C: D100008D 00A31B42
	v_cmp_le_u32_e64 s[40:41], v242, v64                       // 000000016A64: D0CB0028 000281F2
	v_add_u32_e32 v242, 64, v242                               // 000000016A6C: 69E5E4C0
	s_nop 0                                                    // 000000016A70: BF800000
	v_cndmask_b32_e64 v142, v66, v142, s[40:41]                // 000000016A74: D100008E 00A31D42
	v_cmp_le_u32_e64 s[40:41], v243, v64                       // 000000016A7C: D0CB0028 000281F3
	v_add_u32_e32 v243, 64, v243                               // 000000016A84: 69E7E6C0
	s_nop 0                                                    // 000000016A88: BF800000
	v_cndmask_b32_e64 v143, v66, v143, s[40:41]                // 000000016A8C: D100008F 00A31F42

0000000000016a94 <label_5225>:
	v_mov_b32_e32 v48, v128                                    // 000000016A94: 7E600380
	v_max3_f32 v48, v128, v129, v48                            // 000000016A98: D1D30030 04C30380
	v_max3_f32 v48, v130, v131, v48                            // 000000016AA0: D1D30030 04C30782
	v_max3_f32 v48, v132, v133, v48                            // 000000016AA8: D1D30030 04C30B84
	v_max3_f32 v48, v134, v135, v48                            // 000000016AB0: D1D30030 04C30F86
	v_max3_f32 v48, v136, v137, v48                            // 000000016AB8: D1D30030 04C31388
	v_max3_f32 v48, v138, v139, v48                            // 000000016AC0: D1D30030 04C3178A
	v_max3_f32 v48, v140, v141, v48                            // 000000016AC8: D1D30030 04C31B8C
	v_max3_f32 v48, v142, v143, v48                            // 000000016AD0: D1D30030 04C31F8E
	ds_write_b32 v8, v48 offset:16896                          // 000000016AD8: D81A4200 00003008
	v_mul_f32_e32 v216, v50, v216                              // 000000016AE0: 0BB1B132
	v_mul_f32_e32 v217, v50, v217                              // 000000016AE4: 0BB3B332
	v_mul_f32_e32 v218, v50, v218                              // 000000016AE8: 0BB5B532
	v_mul_f32_e32 v219, v50, v219                              // 000000016AEC: 0BB7B732
	v_mul_f32_e32 v220, v50, v220                              // 000000016AF0: 0BB9B932
	v_mul_f32_e32 v221, v50, v221                              // 000000016AF4: 0BBBBB32
	v_mul_f32_e32 v222, v50, v222                              // 000000016AF8: 0BBDBD32
	v_mul_f32_e32 v223, v50, v223                              // 000000016AFC: 0BBFBF32
	s_waitcnt lgkmcnt(0)                                       // 000000016B00: BF8CC07F
	s_barrier                                                  // 000000016B04: BF8A0000
	ds_read_b32 v64, v7 offset:16896                           // 000000016B08: D86C4200 40000007
	ds_read_b32 v65, v7 offset:16960                           // 000000016B10: D86C4240 41000007
	ds_read_b32 v66, v7 offset:17024                           // 000000016B18: D86C4280 42000007
	ds_read_b32 v67, v7 offset:17088                           // 000000016B20: D86C42C0 43000007
	ds_read_b32 v68, v7 offset:17152                           // 000000016B28: D86C4300 44000007
	ds_read_b32 v69, v7 offset:17216                           // 000000016B30: D86C4340 45000007
	ds_read_b32 v70, v7 offset:17280                           // 000000016B38: D86C4380 46000007
	ds_read_b32 v71, v7 offset:17344                           // 000000016B40: D86C43C0 47000007
	ds_read_b32 v72, v7 offset:17408                           // 000000016B48: D86C4400 48000007
	ds_read_b32 v73, v7 offset:17472                           // 000000016B50: D86C4440 49000007
	ds_read_b32 v74, v7 offset:17536                           // 000000016B58: D86C4480 4A000007
	ds_read_b32 v75, v7 offset:17600                           // 000000016B60: D86C44C0 4B000007
	ds_read_b32 v76, v7 offset:17664                           // 000000016B68: D86C4500 4C000007
	ds_read_b32 v77, v7 offset:17728                           // 000000016B70: D86C4540 4D000007
	ds_read_b32 v78, v7 offset:17792                           // 000000016B78: D86C4580 4E000007
	ds_read_b32 v79, v7 offset:17856                           // 000000016B80: D86C45C0 4F000007
	v_cvt_f32_i32_e32 v184, v184                               // 000000016B88: 7F700BB8
	v_cvt_f32_i32_e32 v185, v185                               // 000000016B8C: 7F720BB9
	v_cvt_f32_i32_e32 v186, v186                               // 000000016B90: 7F740BBA
	v_cvt_f32_i32_e32 v187, v187                               // 000000016B94: 7F760BBB
	v_cvt_f32_i32_e32 v188, v188                               // 000000016B98: 7F780BBC
	v_cvt_f32_i32_e32 v189, v189                               // 000000016B9C: 7F7A0BBD
	v_cvt_f32_i32_e32 v190, v190                               // 000000016BA0: 7F7C0BBE
	v_cvt_f32_i32_e32 v191, v191                               // 000000016BA4: 7F7E0BBF
	v_mul_f32_e32 v184, v45, v184                              // 000000016BA8: 0B71712D
	v_mul_f32_e32 v185, v45, v185                              // 000000016BAC: 0B73732D
	v_mul_f32_e32 v186, v45, v186                              // 000000016BB0: 0B75752D
	v_mul_f32_e32 v187, v45, v187                              // 000000016BB4: 0B77772D
	v_mul_f32_e32 v188, v45, v188                              // 000000016BB8: 0B79792D
	v_mul_f32_e32 v189, v45, v189                              // 000000016BBC: 0B7B7B2D
	v_mul_f32_e32 v190, v45, v190                              // 000000016BC0: 0B7D7D2D
	v_mul_f32_e32 v191, v45, v191                              // 000000016BC4: 0B7F7F2D
	s_waitcnt lgkmcnt(0)                                       // 000000016BC8: BF8CC07F
	v_max3_f32 v48, v64, v65, v48                              // 000000016BCC: D1D30030 04C28340
	v_max3_f32 v48, v66, v67, v48                              // 000000016BD4: D1D30030 04C28742
	v_max3_f32 v48, v68, v69, v48                              // 000000016BDC: D1D30030 04C28B44
	v_max3_f32 v48, v70, v71, v48                              // 000000016BE4: D1D30030 04C28F46
	v_max3_f32 v48, v72, v73, v48                              // 000000016BEC: D1D30030 04C29348
	v_max3_f32 v48, v74, v75, v48                              // 000000016BF4: D1D30030 04C2974A
	v_max3_f32 v48, v76, v77, v48                              // 000000016BFC: D1D30030 04C29B4C
	v_max3_f32 v48, v78, v79, v48                              // 000000016C04: D1D30030 04C29F4E
	v_mov_b32_e32 v64, 0xff800000                              // 000000016C0C: 7E8002FF FF800000
	v_cmp_eq_u32_e64 s[40:41], v64, v12                        // 000000016C14: D0CA0028 00021940
	s_nop 1                                                    // 000000016C1C: BF800001
	v_max_f32_e32 v15, v48, v12                                // 000000016C20: 161E1930
	v_mul_f32_e32 v53, s64, v15                                // 000000016C24: 0A6A1E40
	v_fma_f32 v128, v128, s64, -v53                            // 000000016C28: D1CB0080 84D48180
	v_fma_f32 v129, v129, s64, -v53                            // 000000016C30: D1CB0081 84D48181
	v_fma_f32 v130, v130, s64, -v53                            // 000000016C38: D1CB0082 84D48182
	v_fma_f32 v131, v131, s64, -v53                            // 000000016C40: D1CB0083 84D48183
	v_fma_f32 v132, v132, s64, -v53                            // 000000016C48: D1CB0084 84D48184
	v_fma_f32 v133, v133, s64, -v53                            // 000000016C50: D1CB0085 84D48185
	v_fma_f32 v134, v134, s64, -v53                            // 000000016C58: D1CB0086 84D48186
	v_fma_f32 v135, v135, s64, -v53                            // 000000016C60: D1CB0087 84D48187
	v_fma_f32 v136, v136, s64, -v53                            // 000000016C68: D1CB0088 84D48188
	v_fma_f32 v137, v137, s64, -v53                            // 000000016C70: D1CB0089 84D48189
	v_fma_f32 v138, v138, s64, -v53                            // 000000016C78: D1CB008A 84D4818A
	v_fma_f32 v139, v139, s64, -v53                            // 000000016C80: D1CB008B 84D4818B
	v_fma_f32 v140, v140, s64, -v53                            // 000000016C88: D1CB008C 84D4818C
	v_fma_f32 v141, v141, s64, -v53                            // 000000016C90: D1CB008D 84D4818D
	v_fma_f32 v142, v142, s64, -v53                            // 000000016C98: D1CB008E 84D4818E
	v_fma_f32 v143, v143, s64, -v53                            // 000000016CA0: D1CB008F 84D4818F
	v_exp_f32_e32 v128, v128                                   // 000000016CA8: 7F004180
	v_exp_f32_e32 v129, v129                                   // 000000016CAC: 7F024181
	v_exp_f32_e32 v130, v130                                   // 000000016CB0: 7F044182
	v_exp_f32_e32 v131, v131                                   // 000000016CB4: 7F064183
	v_exp_f32_e32 v132, v132                                   // 000000016CB8: 7F084184
	v_exp_f32_e32 v133, v133                                   // 000000016CBC: 7F0A4185
	v_exp_f32_e32 v134, v134                                   // 000000016CC0: 7F0C4186
	v_exp_f32_e32 v135, v135                                   // 000000016CC4: 7F0E4187
	v_exp_f32_e32 v136, v136                                   // 000000016CC8: 7F104188
	v_exp_f32_e32 v137, v137                                   // 000000016CCC: 7F124189
	v_exp_f32_e32 v138, v138                                   // 000000016CD0: 7F14418A
	v_exp_f32_e32 v139, v139                                   // 000000016CD4: 7F16418B
	v_exp_f32_e32 v140, v140                                   // 000000016CD8: 7F18418C
	v_exp_f32_e32 v141, v141                                   // 000000016CDC: 7F1A418D
	v_exp_f32_e32 v142, v142                                   // 000000016CE0: 7F1C418E
	v_exp_f32_e32 v143, v143                                   // 000000016CE4: 7F1E418F
	v_mul_f32_dpp v240, v252, v128 quad_perm:[0,0,0,0] row_mask:0xf bank_mask:0xf// 000000016CE8: 0BE100FA FF0000FC
	v_mul_f32_dpp v241, v252, v129 quad_perm:[1,1,1,1] row_mask:0xf bank_mask:0xf// 000000016CF0: 0BE302FA FF0055FC
	v_mul_f32_dpp v242, v252, v130 quad_perm:[2,2,2,2] row_mask:0xf bank_mask:0xf// 000000016CF8: 0BE504FA FF00AAFC
	v_mul_f32_dpp v243, v252, v131 quad_perm:[3,3,3,3] row_mask:0xf bank_mask:0xf// 000000016D00: 0BE706FA FF00FFFC
	v_mul_f32_dpp v244, v253, v132 quad_perm:[0,0,0,0] row_mask:0xf bank_mask:0xf// 000000016D08: 0BE908FA FF0000FD
	v_mul_f32_dpp v245, v253, v133 quad_perm:[1,1,1,1] row_mask:0xf bank_mask:0xf// 000000016D10: 0BEB0AFA FF0055FD
	v_mul_f32_dpp v246, v253, v134 quad_perm:[2,2,2,2] row_mask:0xf bank_mask:0xf// 000000016D18: 0BED0CFA FF00AAFD
	v_mul_f32_dpp v247, v253, v135 quad_perm:[3,3,3,3] row_mask:0xf bank_mask:0xf// 000000016D20: 0BEF0EFA FF00FFFD
	v_mul_f32_dpp v248, v254, v136 quad_perm:[0,0,0,0] row_mask:0xf bank_mask:0xf// 000000016D28: 0BF110FA FF0000FE
	v_mul_f32_dpp v249, v254, v137 quad_perm:[1,1,1,1] row_mask:0xf bank_mask:0xf// 000000016D30: 0BF312FA FF0055FE
	v_mul_f32_dpp v250, v254, v138 quad_perm:[2,2,2,2] row_mask:0xf bank_mask:0xf// 000000016D38: 0BF514FA FF00AAFE
	v_mul_f32_dpp v251, v254, v139 quad_perm:[3,3,3,3] row_mask:0xf bank_mask:0xf// 000000016D40: 0BF716FA FF00FFFE
	v_mul_f32_dpp v252, v255, v140 quad_perm:[0,0,0,0] row_mask:0xf bank_mask:0xf// 000000016D48: 0BF918FA FF0000FF
	v_mul_f32_dpp v253, v255, v141 quad_perm:[1,1,1,1] row_mask:0xf bank_mask:0xf// 000000016D50: 0BFB1AFA FF0055FF
	v_mul_f32_dpp v254, v255, v142 quad_perm:[2,2,2,2] row_mask:0xf bank_mask:0xf// 000000016D58: 0BFD1CFA FF00AAFF
	v_mul_f32_dpp v255, v255, v143 quad_perm:[3,3,3,3] row_mask:0xf bank_mask:0xf// 000000016D60: 0BFF1EFA FF00FFFF
	v_mov_b32_e32 v48, 0x358637bd                              // 000000016D68: 7E6002FF 358637BD
	v_max3_f32 v48, |v240|, |v241|, v48                        // 000000016D70: D1D30330 04C3E3F0
	v_max3_f32 v48, |v242|, |v243|, v48                        // 000000016D78: D1D30330 04C3E7F2
	v_max3_f32 v48, |v244|, |v245|, v48                        // 000000016D80: D1D30330 04C3EBF4
	v_max3_f32 v48, |v246|, |v247|, v48                        // 000000016D88: D1D30330 04C3EFF6
	v_max3_f32 v48, |v248|, |v249|, v48                        // 000000016D90: D1D30330 04C3F3F8
	v_max3_f32 v48, |v250|, |v251|, v48                        // 000000016D98: D1D30330 04C3F7FA
	v_max3_f32 v48, |v252|, |v253|, v48                        // 000000016DA0: D1D30330 04C3FBFC
	v_max3_f32 v48, |v254|, |v255|, v48                        // 000000016DA8: D1D30330 04C3FFFE
	ds_write_b32 v8, v48 offset:20992                          // 000000016DB0: D81A5200 00003008
	v_sub_f32_e32 v50, v12, v15                                // 000000016DB8: 04641F0C
	v_cndmask_b32_e64 v50, v50, 0, s[40:41]                    // 000000016DBC: D1000032 00A10132
	v_mov_b32_e32 v12, v15                                     // 000000016DC4: 7E18030F
	v_mul_f32_e32 v50, s64, v50                                // 000000016DC8: 0A646440
	v_exp_f32_e32 v50, v50                                     // 000000016DCC: 7E644132
	s_waitcnt lgkmcnt(0)                                       // 000000016DD0: BF8CC07F
	s_barrier                                                  // 000000016DD4: BF8A0000
	ds_read_b32 v64, v7 offset:20992                           // 000000016DD8: D86C5200 40000007
	ds_read_b32 v65, v7 offset:21056                           // 000000016DE0: D86C5240 41000007
	ds_read_b32 v66, v7 offset:21120                           // 000000016DE8: D86C5280 42000007
	ds_read_b32 v67, v7 offset:21184                           // 000000016DF0: D86C52C0 43000007
	ds_read_b32 v68, v7 offset:21248                           // 000000016DF8: D86C5300 44000007
	ds_read_b32 v69, v7 offset:21312                           // 000000016E00: D86C5340 45000007
	ds_read_b32 v70, v7 offset:21376                           // 000000016E08: D86C5380 46000007
	ds_read_b32 v71, v7 offset:21440                           // 000000016E10: D86C53C0 47000007
	ds_read_b32 v72, v7 offset:21504                           // 000000016E18: D86C5400 48000007
	ds_read_b32 v73, v7 offset:21568                           // 000000016E20: D86C5440 49000007
	ds_read_b32 v74, v7 offset:21632                           // 000000016E28: D86C5480 4A000007
	ds_read_b32 v75, v7 offset:21696                           // 000000016E30: D86C54C0 4B000007
	ds_read_b32 v76, v7 offset:21760                           // 000000016E38: D86C5500 4C000007
	ds_read_b32 v77, v7 offset:21824                           // 000000016E40: D86C5540 4D000007
	ds_read_b32 v78, v7 offset:21888                           // 000000016E48: D86C5580 4E000007
	ds_read_b32 v79, v7 offset:21952                           // 000000016E50: D86C55C0 4F000007
	v_mul_f32_e32 v39, v50, v39                                // 000000016E58: 0A4E4F32
	v_mov_b32_e32 v15, v128                                    // 000000016E5C: 7E1E0380
	v_add_f32_e32 v15, v129, v15                               // 000000016E60: 021E1F81
	v_add_f32_e32 v15, v130, v15                               // 000000016E64: 021E1F82
	v_add_f32_e32 v15, v131, v15                               // 000000016E68: 021E1F83
	v_add_f32_e32 v15, v132, v15                               // 000000016E6C: 021E1F84
	v_add_f32_e32 v15, v133, v15                               // 000000016E70: 021E1F85
	v_add_f32_e32 v15, v134, v15                               // 000000016E74: 021E1F86
	v_add_f32_e32 v15, v135, v15                               // 000000016E78: 021E1F87
	v_add_f32_e32 v15, v136, v15                               // 000000016E7C: 021E1F88
	v_add_f32_e32 v15, v137, v15                               // 000000016E80: 021E1F89
	v_add_f32_e32 v15, v138, v15                               // 000000016E84: 021E1F8A
	v_add_f32_e32 v15, v139, v15                               // 000000016E88: 021E1F8B
	v_add_f32_e32 v15, v140, v15                               // 000000016E8C: 021E1F8C
	v_add_f32_e32 v15, v141, v15                               // 000000016E90: 021E1F8D
	v_add_f32_e32 v15, v142, v15                               // 000000016E94: 021E1F8E
	v_add_f32_e32 v15, v143, v15                               // 000000016E98: 021E1F8F
	v_add_f32_e32 v39, v15, v39                                // 000000016E9C: 024E4F0F
	s_waitcnt lgkmcnt(0)                                       // 000000016EA0: BF8CC07F
	v_max3_f32 v48, |v64|, |v65|, v48                          // 000000016EA4: D1D30330 04C28340
	v_max3_f32 v48, |v66|, |v67|, v48                          // 000000016EAC: D1D30330 04C28742
	v_max3_f32 v48, |v68|, |v69|, v48                          // 000000016EB4: D1D30330 04C28B44
	v_max3_f32 v48, |v70|, |v71|, v48                          // 000000016EBC: D1D30330 04C28F46
	v_max3_f32 v48, |v72|, |v73|, v48                          // 000000016EC4: D1D30330 04C29348
	v_max3_f32 v48, |v74|, |v75|, v48                          // 000000016ECC: D1D30330 04C2974A
	v_max3_f32 v48, |v76|, |v77|, v48                          // 000000016ED4: D1D30330 04C29B4C
	v_max3_f32 v48, |v78|, |v79|, v48                          // 000000016EDC: D1D30330 04C29F4E
	s_nop 2                                                    // 000000016EE4: BF800002
	v_rcp_f32_e32 v48, v48                                     // 000000016EE8: 7E604530
	s_nop 1                                                    // 000000016EEC: BF800001
	v_mul_f32_e32 v48, 0x42fe0000, v48                         // 000000016EF0: 0A6060FF 42FE0000
	v_mul_f32_e32 v128, v48, v240                              // 000000016EF8: 0B01E130
	v_mul_f32_e32 v129, v48, v241                              // 000000016EFC: 0B03E330
	v_mul_f32_e32 v130, v48, v242                              // 000000016F00: 0B05E530
	v_mul_f32_e32 v131, v48, v243                              // 000000016F04: 0B07E730
	v_mul_f32_e32 v132, v48, v244                              // 000000016F08: 0B09E930
	v_mul_f32_e32 v133, v48, v245                              // 000000016F0C: 0B0BEB30
	v_mul_f32_e32 v134, v48, v246                              // 000000016F10: 0B0DED30
	v_mul_f32_e32 v135, v48, v247                              // 000000016F14: 0B0FEF30
	v_mul_f32_e32 v136, v48, v248                              // 000000016F18: 0B11F130
	v_mul_f32_e32 v137, v48, v249                              // 000000016F1C: 0B13F330
	v_mul_f32_e32 v138, v48, v250                              // 000000016F20: 0B15F530
	v_mul_f32_e32 v139, v48, v251                              // 000000016F24: 0B17F730
	v_mul_f32_e32 v140, v48, v252                              // 000000016F28: 0B19F930
	v_mul_f32_e32 v141, v48, v253                              // 000000016F2C: 0B1BFB30
	v_mul_f32_e32 v142, v48, v254                              // 000000016F30: 0B1DFD30
	v_mul_f32_e32 v143, v48, v255                              // 000000016F34: 0B1FFF30
	v_cvt_i32_f32_e32 v128, v128                               // 000000016F38: 7F001180
	v_cvt_i32_f32_e32 v129, v129                               // 000000016F3C: 7F021181
	v_cvt_i32_f32_e32 v130, v130                               // 000000016F40: 7F041182
	v_cvt_i32_f32_e32 v131, v131                               // 000000016F44: 7F061183
	v_cvt_i32_f32_e32 v132, v132                               // 000000016F48: 7F081184
	v_cvt_i32_f32_e32 v133, v133                               // 000000016F4C: 7F0A1185
	v_cvt_i32_f32_e32 v134, v134                               // 000000016F50: 7F0C1186
	v_cvt_i32_f32_e32 v135, v135                               // 000000016F54: 7F0E1187
	v_cvt_i32_f32_e32 v136, v136                               // 000000016F58: 7F101188
	v_cvt_i32_f32_e32 v137, v137                               // 000000016F5C: 7F121189
	v_cvt_i32_f32_e32 v138, v138                               // 000000016F60: 7F14118A
	v_cvt_i32_f32_e32 v139, v139                               // 000000016F64: 7F16118B
	v_cvt_i32_f32_e32 v140, v140                               // 000000016F68: 7F18118C
	v_cvt_i32_f32_e32 v141, v141                               // 000000016F6C: 7F1A118D
	v_cvt_i32_f32_e32 v142, v142                               // 000000016F70: 7F1C118E
	v_cvt_i32_f32_e32 v143, v143                               // 000000016F74: 7F1E118F
	v_perm_b32 v128, v129, v128, s53                           // 000000016F78: D1ED0080 00D70181
	v_perm_b32 v128, v130, v128, s54                           // 000000016F80: D1ED0080 00DB0182
	v_perm_b32 v128, v131, v128, s55                           // 000000016F88: D1ED0080 00DF0183
	v_perm_b32 v129, v133, v132, s53                           // 000000016F90: D1ED0081 00D70985
	v_perm_b32 v129, v134, v129, s54                           // 000000016F98: D1ED0081 00DB0386
	v_perm_b32 v129, v135, v129, s55                           // 000000016FA0: D1ED0081 00DF0387
	v_perm_b32 v130, v137, v136, s53                           // 000000016FA8: D1ED0082 00D71189
	v_perm_b32 v130, v138, v130, s54                           // 000000016FB0: D1ED0082 00DB058A
	v_perm_b32 v130, v139, v130, s55                           // 000000016FB8: D1ED0082 00DF058B
	v_perm_b32 v131, v141, v140, s53                           // 000000016FC0: D1ED0083 00D7198D
	v_perm_b32 v131, v142, v131, s54                           // 000000016FC8: D1ED0083 00DB078E
	v_perm_b32 v131, v143, v131, s55                           // 000000016FD0: D1ED0083 00DF078F
	ds_write_b32 v10, v128 offset:29184                        // 000000016FD8: D81A7200 0000800A
	ds_write_b32 v10, v129 offset:30208                        // 000000016FE0: D81A7600 0000810A
	ds_write_b32 v10, v130 offset:31232                        // 000000016FE8: D81A7A00 0000820A
	ds_write_b32 v10, v131 offset:32256                        // 000000016FF0: D81A7E00 0000830A
	v_add_f32_e32 v216, v216, v184                             // 000000016FF8: 03B171D8
	v_add_f32_e32 v217, v217, v185                             // 000000016FFC: 03B373D9
	v_add_f32_e32 v218, v218, v186                             // 000000017000: 03B575DA
	v_add_f32_e32 v219, v219, v187                             // 000000017004: 03B777DB
	v_add_f32_e32 v220, v220, v188                             // 000000017008: 03B979DC
	v_add_f32_e32 v221, v221, v189                             // 00000001700C: 03BB7BDD
	v_add_f32_e32 v222, v222, v190                             // 000000017010: 03BD7DDE
	v_add_f32_e32 v223, v223, v191                             // 000000017014: 03BF7FDF
	v_rcp_f32_e32 v45, v48                                     // 000000017018: 7E5A4530
	s_waitcnt lgkmcnt(0)                                       // 00000001701C: BF8CC07F
	s_barrier                                                  // 000000017020: BF8A0000
	ds_read_b64 v[128:129], v9 offset:29184                    // 000000017024: D8EC7200 80000009
	ds_read_b64 v[130:131], v9 offset:29312                    // 00000001702C: D8EC7280 82000009
	ds_read_b64 v[132:133], v9 offset:30208                    // 000000017034: D8EC7600 84000009
	ds_read_b64 v[134:135], v9 offset:30336                    // 00000001703C: D8EC7680 86000009
	ds_read_b64 v[136:137], v9 offset:31232                    // 000000017044: D8EC7A00 88000009
	ds_read_b64 v[138:139], v9 offset:31360                    // 00000001704C: D8EC7A80 8A000009
	ds_read_b64 v[140:141], v9 offset:32256                    // 000000017054: D8EC7E00 8C000009
	ds_read_b64 v[142:143], v9 offset:32384                    // 00000001705C: D8EC7E80 8E000009
	v_mov_b32_dpp v64, v42 row_shr:4 row_mask:0xf bank_mask:0xf// 000000017064: 7E8002FA FF01142A
	v_mov_b32_dpp v65, v42 row_shl:4 row_mask:0xf bank_mask:0xf// 00000001706C: 7E8202FA FF01042A
	v_cndmask_b32_e64 v248, v42, v64, s[44:45]                 // 000000017074: D10000F8 00B2812A
	v_cndmask_b32_e64 v249, v65, v42, s[44:45]                 // 00000001707C: D10000F9 00B25541
	v_mov_b32_dpp v64, v248 row_shr:8 row_mask:0xf bank_mask:0xf// 000000017084: 7E8002FA FF0118F8
	v_mov_b32_dpp v65, v248 row_shl:8 row_mask:0xf bank_mask:0xf// 00000001708C: 7E8202FA FF0108F8
	v_mov_b32_dpp v66, v249 row_shr:8 row_mask:0xf bank_mask:0xf// 000000017094: 7E8402FA FF0118F9
	v_mov_b32_dpp v67, v249 row_shl:8 row_mask:0xf bank_mask:0xf// 00000001709C: 7E8602FA FF0108F9
	v_mov_b32_e32 v68, v248                                    // 0000000170A4: 7E8803F8
	v_mov_b32_e32 v69, v249                                    // 0000000170A8: 7E8A03F9
	v_cndmask_b32_e64 v248, v68, v64, s[42:43]                 // 0000000170AC: D10000F8 00AA8144
	v_cndmask_b32_e64 v250, v68, v65, s[78:79]                 // 0000000170B4: D10000FA 013A8344
	v_cndmask_b32_e64 v249, v69, v66, s[42:43]                 // 0000000170BC: D10000F9 00AA8545
	v_cndmask_b32_e64 v251, v69, v67, s[78:79]                 // 0000000170C4: D10000FB 013A8745
	v_mov_b32_dpp v64, v57 row_shr:4 row_mask:0xf bank_mask:0xf// 0000000170CC: 7E8002FA FF011439
	v_mov_b32_dpp v65, v57 row_shl:4 row_mask:0xf bank_mask:0xf// 0000000170D4: 7E8202FA FF010439
	v_cndmask_b32_e64 v252, v57, v64, s[44:45]                 // 0000000170DC: D10000FC 00B28139
	v_cndmask_b32_e64 v253, v65, v57, s[44:45]                 // 0000000170E4: D10000FD 00B27341
	v_mov_b32_dpp v64, v252 row_shr:8 row_mask:0xf bank_mask:0xf// 0000000170EC: 7E8002FA FF0118FC
	v_mov_b32_dpp v65, v252 row_shl:8 row_mask:0xf bank_mask:0xf// 0000000170F4: 7E8202FA FF0108FC
	v_mov_b32_dpp v66, v253 row_shr:8 row_mask:0xf bank_mask:0xf// 0000000170FC: 7E8402FA FF0118FD
	v_mov_b32_dpp v67, v253 row_shl:8 row_mask:0xf bank_mask:0xf// 000000017104: 7E8602FA FF0108FD
	v_mov_b32_e32 v68, v252                                    // 00000001710C: 7E8803FC
	v_mov_b32_e32 v69, v253                                    // 000000017110: 7E8A03FD
	v_cndmask_b32_e64 v252, v68, v64, s[42:43]                 // 000000017114: D10000FC 00AA8144
	v_cndmask_b32_e64 v254, v68, v65, s[78:79]                 // 00000001711C: D10000FE 013A8344
	v_cndmask_b32_e64 v253, v69, v66, s[42:43]                 // 000000017124: D10000FD 00AA8545
	v_cndmask_b32_e64 v255, v69, v67, s[78:79]                 // 00000001712C: D10000FF 013A8745
	v_cvt_f32_i32_e32 v144, v144                               // 000000017134: 7F200B90
	v_cvt_f32_i32_e32 v145, v145                               // 000000017138: 7F220B91
	v_cvt_f32_i32_e32 v146, v146                               // 00000001713C: 7F240B92
	v_cvt_f32_i32_e32 v147, v147                               // 000000017140: 7F260B93
	v_cvt_f32_i32_e32 v148, v148                               // 000000017144: 7F280B94
	v_cvt_f32_i32_e32 v149, v149                               // 000000017148: 7F2A0B95
	v_cvt_f32_i32_e32 v150, v150                               // 00000001714C: 7F2C0B96
	v_cvt_f32_i32_e32 v151, v151                               // 000000017150: 7F2E0B97
	v_cvt_f32_i32_e32 v152, v152                               // 000000017154: 7F300B98
	v_cvt_f32_i32_e32 v153, v153                               // 000000017158: 7F320B99
	v_cvt_f32_i32_e32 v154, v154                               // 00000001715C: 7F340B9A
	v_cvt_f32_i32_e32 v155, v155                               // 000000017160: 7F360B9B
	v_cvt_f32_i32_e32 v156, v156                               // 000000017164: 7F380B9C
	v_cvt_f32_i32_e32 v157, v157                               // 000000017168: 7F3A0B9D
	v_cvt_f32_i32_e32 v158, v158                               // 00000001716C: 7F3C0B9E
	v_cvt_f32_i32_e32 v159, v159                               // 000000017170: 7F3E0B9F
	v_mul_f32_e32 v144, v20, v144                              // 000000017174: 0B212114
	v_mul_f32_e32 v145, v20, v145                              // 000000017178: 0B232314
	v_mul_f32_e32 v146, v20, v146                              // 00000001717C: 0B252514
	v_mul_f32_e32 v147, v20, v147                              // 000000017180: 0B272714
	v_mul_f32_e32 v148, v20, v148                              // 000000017184: 0B292914
	v_mul_f32_e32 v149, v20, v149                              // 000000017188: 0B2B2B14
	v_mul_f32_e32 v150, v20, v150                              // 00000001718C: 0B2D2D14
	v_mul_f32_e32 v151, v20, v151                              // 000000017190: 0B2F2F14
	v_mul_f32_e32 v152, v20, v152                              // 000000017194: 0B313114
	v_mul_f32_e32 v153, v20, v153                              // 000000017198: 0B333314
	v_mul_f32_e32 v154, v20, v154                              // 00000001719C: 0B353514
	v_mul_f32_e32 v155, v20, v155                              // 0000000171A0: 0B373714
	v_mul_f32_e32 v156, v20, v156                              // 0000000171A4: 0B393914
	v_mul_f32_e32 v157, v20, v157                              // 0000000171A8: 0B3B3B14
	v_mul_f32_e32 v158, v20, v158                              // 0000000171AC: 0B3D3D14
	v_mul_f32_e32 v159, v20, v159                              // 0000000171B0: 0B3F3F14
	v_mul_f32_dpp v144, v248, v144 quad_perm:[0,0,0,0] row_mask:0xf bank_mask:0xf// 0000000171B4: 0B2120FA FF0000F8
	v_mul_f32_dpp v145, v248, v145 quad_perm:[1,1,1,1] row_mask:0xf bank_mask:0xf// 0000000171BC: 0B2322FA FF0055F8
	v_mul_f32_dpp v146, v248, v146 quad_perm:[2,2,2,2] row_mask:0xf bank_mask:0xf// 0000000171C4: 0B2524FA FF00AAF8
	v_mul_f32_dpp v147, v248, v147 quad_perm:[3,3,3,3] row_mask:0xf bank_mask:0xf// 0000000171CC: 0B2726FA FF00FFF8
	v_mul_f32_dpp v148, v249, v148 quad_perm:[0,0,0,0] row_mask:0xf bank_mask:0xf// 0000000171D4: 0B2928FA FF0000F9
	v_mul_f32_dpp v149, v249, v149 quad_perm:[1,1,1,1] row_mask:0xf bank_mask:0xf// 0000000171DC: 0B2B2AFA FF0055F9
	v_mul_f32_dpp v150, v249, v150 quad_perm:[2,2,2,2] row_mask:0xf bank_mask:0xf// 0000000171E4: 0B2D2CFA FF00AAF9
	v_mul_f32_dpp v151, v249, v151 quad_perm:[3,3,3,3] row_mask:0xf bank_mask:0xf// 0000000171EC: 0B2F2EFA FF00FFF9
	v_mul_f32_dpp v152, v250, v152 quad_perm:[0,0,0,0] row_mask:0xf bank_mask:0xf// 0000000171F4: 0B3130FA FF0000FA
	v_mul_f32_dpp v153, v250, v153 quad_perm:[1,1,1,1] row_mask:0xf bank_mask:0xf// 0000000171FC: 0B3332FA FF0055FA
	v_mul_f32_dpp v154, v250, v154 quad_perm:[2,2,2,2] row_mask:0xf bank_mask:0xf// 000000017204: 0B3534FA FF00AAFA
	v_mul_f32_dpp v155, v250, v155 quad_perm:[3,3,3,3] row_mask:0xf bank_mask:0xf// 00000001720C: 0B3736FA FF00FFFA
	v_mul_f32_dpp v156, v251, v156 quad_perm:[0,0,0,0] row_mask:0xf bank_mask:0xf// 000000017214: 0B3938FA FF0000FB
	v_mul_f32_dpp v157, v251, v157 quad_perm:[1,1,1,1] row_mask:0xf bank_mask:0xf// 00000001721C: 0B3B3AFA FF0055FB
	v_mul_f32_dpp v158, v251, v158 quad_perm:[2,2,2,2] row_mask:0xf bank_mask:0xf// 000000017224: 0B3D3CFA FF00AAFB
	v_mul_f32_dpp v159, v251, v159 quad_perm:[3,3,3,3] row_mask:0xf bank_mask:0xf// 00000001722C: 0B3F3EFA FF00FFFB
	s_cmp_le_i32 s90, s89                                      // 000000017234: BF05595A
	s_cbranch_scc1 label_5480                                  // 000000017238: BF850071
	v_mov_b32_e32 v66, 0xff800000                              // 00000001723C: 7E8402FF FF800000
	s_mov_b32 s60, s90                                         // 000000017244: BEBC005A
	s_add_u32 s61, s89, 0xff                                   // 000000017248: 803DFF59 000000FF
	v_mov_b32_e32 v64, s61                                     // 000000017250: 7E80023D
	v_lshrrev_b32_e32 v240, 4, v0                              // 000000017254: 21E00084
	v_mul_i32_i24_e32 v240, 4, v240                            // 000000017258: 0DE1E084
	v_add_u32_e32 v240, s60, v240                              // 00000001725C: 69E1E03C
	s_mov_b32 s61, 2                                           // 000000017260: BEBD0082
	s_mul_i32 s60, 16, s7                                      // 000000017264: 923C0790
	v_sub_u32_e64 v240, v240, s61                              // 000000017268: D13500F0 00007BF0
	v_add_u32_e32 v240, s60, v240                              // 000000017270: 69E1E03C
	v_add_u32_e32 v241, 1, v240                                // 000000017274: 69E3E081
	v_add_u32_e32 v242, 2, v240                                // 000000017278: 69E5E082
	v_add_u32_e32 v243, 3, v240                                // 00000001727C: 69E7E083
	v_cmp_le_u32_e64 s[40:41], v240, v64                       // 000000017280: D0CB0028 000281F0
	v_add_u32_e32 v240, 64, v240                               // 000000017288: 69E1E0C0
	s_nop 0                                                    // 00000001728C: BF800000
	v_cndmask_b32_e64 v144, v66, v144, s[40:41]                // 000000017290: D1000090 00A32142
	v_cmp_le_u32_e64 s[40:41], v241, v64                       // 000000017298: D0CB0028 000281F1
	v_add_u32_e32 v241, 64, v241                               // 0000000172A0: 69E3E2C0
	s_nop 0                                                    // 0000000172A4: BF800000
	v_cndmask_b32_e64 v145, v66, v145, s[40:41]                // 0000000172A8: D1000091 00A32342
	v_cmp_le_u32_e64 s[40:41], v242, v64                       // 0000000172B0: D0CB0028 000281F2
	v_add_u32_e32 v242, 64, v242                               // 0000000172B8: 69E5E4C0
	s_nop 0                                                    // 0000000172BC: BF800000
	v_cndmask_b32_e64 v146, v66, v146, s[40:41]                // 0000000172C0: D1000092 00A32542
	v_cmp_le_u32_e64 s[40:41], v243, v64                       // 0000000172C8: D0CB0028 000281F3
	v_add_u32_e32 v243, 64, v243                               // 0000000172D0: 69E7E6C0
	s_nop 0                                                    // 0000000172D4: BF800000
	v_cndmask_b32_e64 v147, v66, v147, s[40:41]                // 0000000172D8: D1000093 00A32742
	v_cmp_le_u32_e64 s[40:41], v240, v64                       // 0000000172E0: D0CB0028 000281F0
	v_add_u32_e32 v240, 64, v240                               // 0000000172E8: 69E1E0C0
	s_nop 0                                                    // 0000000172EC: BF800000
	v_cndmask_b32_e64 v148, v66, v148, s[40:41]                // 0000000172F0: D1000094 00A32942
	v_cmp_le_u32_e64 s[40:41], v241, v64                       // 0000000172F8: D0CB0028 000281F1
	v_add_u32_e32 v241, 64, v241                               // 000000017300: 69E3E2C0
	s_nop 0                                                    // 000000017304: BF800000
	v_cndmask_b32_e64 v149, v66, v149, s[40:41]                // 000000017308: D1000095 00A32B42
	v_cmp_le_u32_e64 s[40:41], v242, v64                       // 000000017310: D0CB0028 000281F2
	v_add_u32_e32 v242, 64, v242                               // 000000017318: 69E5E4C0
	s_nop 0                                                    // 00000001731C: BF800000
	v_cndmask_b32_e64 v150, v66, v150, s[40:41]                // 000000017320: D1000096 00A32D42
	v_cmp_le_u32_e64 s[40:41], v243, v64                       // 000000017328: D0CB0028 000281F3
	v_add_u32_e32 v243, 64, v243                               // 000000017330: 69E7E6C0
	s_nop 0                                                    // 000000017334: BF800000
	v_cndmask_b32_e64 v151, v66, v151, s[40:41]                // 000000017338: D1000097 00A32F42
	v_cmp_le_u32_e64 s[40:41], v240, v64                       // 000000017340: D0CB0028 000281F0
	v_add_u32_e32 v240, 64, v240                               // 000000017348: 69E1E0C0
	s_nop 0                                                    // 00000001734C: BF800000
	v_cndmask_b32_e64 v152, v66, v152, s[40:41]                // 000000017350: D1000098 00A33142
	v_cmp_le_u32_e64 s[40:41], v241, v64                       // 000000017358: D0CB0028 000281F1
	v_add_u32_e32 v241, 64, v241                               // 000000017360: 69E3E2C0
	s_nop 0                                                    // 000000017364: BF800000
	v_cndmask_b32_e64 v153, v66, v153, s[40:41]                // 000000017368: D1000099 00A33342
	v_cmp_le_u32_e64 s[40:41], v242, v64                       // 000000017370: D0CB0028 000281F2
	v_add_u32_e32 v242, 64, v242                               // 000000017378: 69E5E4C0
	s_nop 0                                                    // 00000001737C: BF800000
	v_cndmask_b32_e64 v154, v66, v154, s[40:41]                // 000000017380: D100009A 00A33542
	v_cmp_le_u32_e64 s[40:41], v243, v64                       // 000000017388: D0CB0028 000281F3
	v_add_u32_e32 v243, 64, v243                               // 000000017390: 69E7E6C0
	s_nop 0                                                    // 000000017394: BF800000
	v_cndmask_b32_e64 v155, v66, v155, s[40:41]                // 000000017398: D100009B 00A33742
	v_cmp_le_u32_e64 s[40:41], v240, v64                       // 0000000173A0: D0CB0028 000281F0
	v_add_u32_e32 v240, 64, v240                               // 0000000173A8: 69E1E0C0
	s_nop 0                                                    // 0000000173AC: BF800000
	v_cndmask_b32_e64 v156, v66, v156, s[40:41]                // 0000000173B0: D100009C 00A33942
	v_cmp_le_u32_e64 s[40:41], v241, v64                       // 0000000173B8: D0CB0028 000281F1
	v_add_u32_e32 v241, 64, v241                               // 0000000173C0: 69E3E2C0
	s_nop 0                                                    // 0000000173C4: BF800000
	v_cndmask_b32_e64 v157, v66, v157, s[40:41]                // 0000000173C8: D100009D 00A33B42
	v_cmp_le_u32_e64 s[40:41], v242, v64                       // 0000000173D0: D0CB0028 000281F2
	v_add_u32_e32 v242, 64, v242                               // 0000000173D8: 69E5E4C0
	s_nop 0                                                    // 0000000173DC: BF800000
	v_cndmask_b32_e64 v158, v66, v158, s[40:41]                // 0000000173E0: D100009E 00A33D42
	v_cmp_le_u32_e64 s[40:41], v243, v64                       // 0000000173E8: D0CB0028 000281F3
	v_add_u32_e32 v243, 64, v243                               // 0000000173F0: 69E7E6C0
	s_nop 0                                                    // 0000000173F4: BF800000
	v_cndmask_b32_e64 v159, v66, v159, s[40:41]                // 0000000173F8: D100009F 00A33F42

0000000000017400 <label_5480>:
	s_add_u32 s90, s91, s90                                    // 000000017400: 805A5A5B
	v_mov_b32_e32 v48, v144                                    // 000000017404: 7E600390
	v_max3_f32 v48, v144, v145, v48                            // 000000017408: D1D30030 04C32390
	v_max3_f32 v48, v146, v147, v48                            // 000000017410: D1D30030 04C32792
	v_max3_f32 v48, v148, v149, v48                            // 000000017418: D1D30030 04C32B94
	v_max3_f32 v48, v150, v151, v48                            // 000000017420: D1D30030 04C32F96
	v_max3_f32 v48, v152, v153, v48                            // 000000017428: D1D30030 04C33398
	v_max3_f32 v48, v154, v155, v48                            // 000000017430: D1D30030 04C3379A
	v_max3_f32 v48, v156, v157, v48                            // 000000017438: D1D30030 04C33B9C
	v_max3_f32 v48, v158, v159, v48                            // 000000017440: D1D30030 04C33F9E
	ds_write_b32 v8, v48 offset:16896                          // 000000017448: D81A4200 00003008
	v_mul_f32_e32 v224, v51, v224                              // 000000017450: 0BC1C133
	v_mul_f32_e32 v225, v51, v225                              // 000000017454: 0BC3C333
	v_mul_f32_e32 v226, v51, v226                              // 000000017458: 0BC5C533
	v_mul_f32_e32 v227, v51, v227                              // 00000001745C: 0BC7C733
	v_mul_f32_e32 v228, v51, v228                              // 000000017460: 0BC9C933
	v_mul_f32_e32 v229, v51, v229                              // 000000017464: 0BCBCB33
	v_mul_f32_e32 v230, v51, v230                              // 000000017468: 0BCDCD33
	v_mul_f32_e32 v231, v51, v231                              // 00000001746C: 0BCFCF33
	s_waitcnt lgkmcnt(0)                                       // 000000017470: BF8CC07F
	s_barrier                                                  // 000000017474: BF8A0000
	ds_read_b32 v64, v7 offset:16896                           // 000000017478: D86C4200 40000007
	ds_read_b32 v65, v7 offset:16960                           // 000000017480: D86C4240 41000007
	ds_read_b32 v66, v7 offset:17024                           // 000000017488: D86C4280 42000007
	ds_read_b32 v67, v7 offset:17088                           // 000000017490: D86C42C0 43000007
	ds_read_b32 v68, v7 offset:17152                           // 000000017498: D86C4300 44000007
	ds_read_b32 v69, v7 offset:17216                           // 0000000174A0: D86C4340 45000007
	ds_read_b32 v70, v7 offset:17280                           // 0000000174A8: D86C4380 46000007
	ds_read_b32 v71, v7 offset:17344                           // 0000000174B0: D86C43C0 47000007
	ds_read_b32 v72, v7 offset:17408                           // 0000000174B8: D86C4400 48000007
	ds_read_b32 v73, v7 offset:17472                           // 0000000174C0: D86C4440 49000007
	ds_read_b32 v74, v7 offset:17536                           // 0000000174C8: D86C4480 4A000007
	ds_read_b32 v75, v7 offset:17600                           // 0000000174D0: D86C44C0 4B000007
	ds_read_b32 v76, v7 offset:17664                           // 0000000174D8: D86C4500 4C000007
	ds_read_b32 v77, v7 offset:17728                           // 0000000174E0: D86C4540 4D000007
	ds_read_b32 v78, v7 offset:17792                           // 0000000174E8: D86C4580 4E000007
	ds_read_b32 v79, v7 offset:17856                           // 0000000174F0: D86C45C0 4F000007
	v_cvt_f32_i32_e32 v192, v192                               // 0000000174F8: 7F800BC0
	v_cvt_f32_i32_e32 v193, v193                               // 0000000174FC: 7F820BC1
	v_cvt_f32_i32_e32 v194, v194                               // 000000017500: 7F840BC2
	v_cvt_f32_i32_e32 v195, v195                               // 000000017504: 7F860BC3
	v_cvt_f32_i32_e32 v196, v196                               // 000000017508: 7F880BC4
	v_cvt_f32_i32_e32 v197, v197                               // 00000001750C: 7F8A0BC5
	v_cvt_f32_i32_e32 v198, v198                               // 000000017510: 7F8C0BC6
	v_cvt_f32_i32_e32 v199, v199                               // 000000017514: 7F8E0BC7
	v_mul_f32_e32 v192, v46, v192                              // 000000017518: 0B81812E
	v_mul_f32_e32 v193, v46, v193                              // 00000001751C: 0B83832E
	v_mul_f32_e32 v194, v46, v194                              // 000000017520: 0B85852E
	v_mul_f32_e32 v195, v46, v195                              // 000000017524: 0B87872E
	v_mul_f32_e32 v196, v46, v196                              // 000000017528: 0B89892E
	v_mul_f32_e32 v197, v46, v197                              // 00000001752C: 0B8B8B2E
	v_mul_f32_e32 v198, v46, v198                              // 000000017530: 0B8D8D2E
	v_mul_f32_e32 v199, v46, v199                              // 000000017534: 0B8F8F2E
	s_waitcnt lgkmcnt(0)                                       // 000000017538: BF8CC07F
	v_max3_f32 v48, v64, v65, v48                              // 00000001753C: D1D30030 04C28340
	v_max3_f32 v48, v66, v67, v48                              // 000000017544: D1D30030 04C28742
	v_max3_f32 v48, v68, v69, v48                              // 00000001754C: D1D30030 04C28B44
	v_max3_f32 v48, v70, v71, v48                              // 000000017554: D1D30030 04C28F46
	v_max3_f32 v48, v72, v73, v48                              // 00000001755C: D1D30030 04C29348
	v_max3_f32 v48, v74, v75, v48                              // 000000017564: D1D30030 04C2974A
	v_max3_f32 v48, v76, v77, v48                              // 00000001756C: D1D30030 04C29B4C
	v_max3_f32 v48, v78, v79, v48                              // 000000017574: D1D30030 04C29F4E
	v_mov_b32_e32 v64, 0xff800000                              // 00000001757C: 7E8002FF FF800000
	v_cmp_eq_u32_e64 s[40:41], v64, v13                        // 000000017584: D0CA0028 00021B40
	s_nop 1                                                    // 00000001758C: BF800001
	v_max_f32_e32 v15, v48, v13                                // 000000017590: 161E1B30
	v_mul_f32_e32 v53, s64, v15                                // 000000017594: 0A6A1E40
	v_fma_f32 v144, v144, s64, -v53                            // 000000017598: D1CB0090 84D48190
	v_fma_f32 v145, v145, s64, -v53                            // 0000000175A0: D1CB0091 84D48191
	v_fma_f32 v146, v146, s64, -v53                            // 0000000175A8: D1CB0092 84D48192
	v_fma_f32 v147, v147, s64, -v53                            // 0000000175B0: D1CB0093 84D48193
	v_fma_f32 v148, v148, s64, -v53                            // 0000000175B8: D1CB0094 84D48194
	v_fma_f32 v149, v149, s64, -v53                            // 0000000175C0: D1CB0095 84D48195
	v_fma_f32 v150, v150, s64, -v53                            // 0000000175C8: D1CB0096 84D48196
	v_fma_f32 v151, v151, s64, -v53                            // 0000000175D0: D1CB0097 84D48197
	v_fma_f32 v152, v152, s64, -v53                            // 0000000175D8: D1CB0098 84D48198
	v_fma_f32 v153, v153, s64, -v53                            // 0000000175E0: D1CB0099 84D48199
	v_fma_f32 v154, v154, s64, -v53                            // 0000000175E8: D1CB009A 84D4819A
	v_fma_f32 v155, v155, s64, -v53                            // 0000000175F0: D1CB009B 84D4819B
	v_fma_f32 v156, v156, s64, -v53                            // 0000000175F8: D1CB009C 84D4819C
	v_fma_f32 v157, v157, s64, -v53                            // 000000017600: D1CB009D 84D4819D
	v_fma_f32 v158, v158, s64, -v53                            // 000000017608: D1CB009E 84D4819E
	v_fma_f32 v159, v159, s64, -v53                            // 000000017610: D1CB009F 84D4819F
	v_exp_f32_e32 v144, v144                                   // 000000017618: 7F204190
	v_exp_f32_e32 v145, v145                                   // 00000001761C: 7F224191
	v_exp_f32_e32 v146, v146                                   // 000000017620: 7F244192
	v_exp_f32_e32 v147, v147                                   // 000000017624: 7F264193
	v_exp_f32_e32 v148, v148                                   // 000000017628: 7F284194
	v_exp_f32_e32 v149, v149                                   // 00000001762C: 7F2A4195
	v_exp_f32_e32 v150, v150                                   // 000000017630: 7F2C4196
	v_exp_f32_e32 v151, v151                                   // 000000017634: 7F2E4197
	v_exp_f32_e32 v152, v152                                   // 000000017638: 7F304198
	v_exp_f32_e32 v153, v153                                   // 00000001763C: 7F324199
	v_exp_f32_e32 v154, v154                                   // 000000017640: 7F34419A
	v_exp_f32_e32 v155, v155                                   // 000000017644: 7F36419B
	v_exp_f32_e32 v156, v156                                   // 000000017648: 7F38419C
	v_exp_f32_e32 v157, v157                                   // 00000001764C: 7F3A419D
	v_exp_f32_e32 v158, v158                                   // 000000017650: 7F3C419E
	v_exp_f32_e32 v159, v159                                   // 000000017654: 7F3E419F
	v_mul_f32_dpp v240, v252, v144 quad_perm:[0,0,0,0] row_mask:0xf bank_mask:0xf// 000000017658: 0BE120FA FF0000FC
	v_mul_f32_dpp v241, v252, v145 quad_perm:[1,1,1,1] row_mask:0xf bank_mask:0xf// 000000017660: 0BE322FA FF0055FC
	v_mul_f32_dpp v242, v252, v146 quad_perm:[2,2,2,2] row_mask:0xf bank_mask:0xf// 000000017668: 0BE524FA FF00AAFC
	v_mul_f32_dpp v243, v252, v147 quad_perm:[3,3,3,3] row_mask:0xf bank_mask:0xf// 000000017670: 0BE726FA FF00FFFC
	v_mul_f32_dpp v244, v253, v148 quad_perm:[0,0,0,0] row_mask:0xf bank_mask:0xf// 000000017678: 0BE928FA FF0000FD
	v_mul_f32_dpp v245, v253, v149 quad_perm:[1,1,1,1] row_mask:0xf bank_mask:0xf// 000000017680: 0BEB2AFA FF0055FD
	v_mul_f32_dpp v246, v253, v150 quad_perm:[2,2,2,2] row_mask:0xf bank_mask:0xf// 000000017688: 0BED2CFA FF00AAFD
	v_mul_f32_dpp v247, v253, v151 quad_perm:[3,3,3,3] row_mask:0xf bank_mask:0xf// 000000017690: 0BEF2EFA FF00FFFD
	v_mul_f32_dpp v248, v254, v152 quad_perm:[0,0,0,0] row_mask:0xf bank_mask:0xf// 000000017698: 0BF130FA FF0000FE
	v_mul_f32_dpp v249, v254, v153 quad_perm:[1,1,1,1] row_mask:0xf bank_mask:0xf// 0000000176A0: 0BF332FA FF0055FE
	v_mul_f32_dpp v250, v254, v154 quad_perm:[2,2,2,2] row_mask:0xf bank_mask:0xf// 0000000176A8: 0BF534FA FF00AAFE
	v_mul_f32_dpp v251, v254, v155 quad_perm:[3,3,3,3] row_mask:0xf bank_mask:0xf// 0000000176B0: 0BF736FA FF00FFFE
	v_mul_f32_dpp v252, v255, v156 quad_perm:[0,0,0,0] row_mask:0xf bank_mask:0xf// 0000000176B8: 0BF938FA FF0000FF
	v_mul_f32_dpp v253, v255, v157 quad_perm:[1,1,1,1] row_mask:0xf bank_mask:0xf// 0000000176C0: 0BFB3AFA FF0055FF
	v_mul_f32_dpp v254, v255, v158 quad_perm:[2,2,2,2] row_mask:0xf bank_mask:0xf// 0000000176C8: 0BFD3CFA FF00AAFF
	v_mul_f32_dpp v255, v255, v159 quad_perm:[3,3,3,3] row_mask:0xf bank_mask:0xf// 0000000176D0: 0BFF3EFA FF00FFFF
	v_mov_b32_e32 v48, 0x358637bd                              // 0000000176D8: 7E6002FF 358637BD
	v_max3_f32 v48, |v240|, |v241|, v48                        // 0000000176E0: D1D30330 04C3E3F0
	v_max3_f32 v48, |v242|, |v243|, v48                        // 0000000176E8: D1D30330 04C3E7F2
	v_max3_f32 v48, |v244|, |v245|, v48                        // 0000000176F0: D1D30330 04C3EBF4
	v_max3_f32 v48, |v246|, |v247|, v48                        // 0000000176F8: D1D30330 04C3EFF6
	v_max3_f32 v48, |v248|, |v249|, v48                        // 000000017700: D1D30330 04C3F3F8
	v_max3_f32 v48, |v250|, |v251|, v48                        // 000000017708: D1D30330 04C3F7FA
	v_max3_f32 v48, |v252|, |v253|, v48                        // 000000017710: D1D30330 04C3FBFC
	v_max3_f32 v48, |v254|, |v255|, v48                        // 000000017718: D1D30330 04C3FFFE
	ds_write_b32 v8, v48 offset:20992                          // 000000017720: D81A5200 00003008
	v_sub_f32_e32 v51, v13, v15                                // 000000017728: 04661F0D
	v_cndmask_b32_e64 v51, v51, 0, s[40:41]                    // 00000001772C: D1000033 00A10133
	v_mov_b32_e32 v13, v15                                     // 000000017734: 7E1A030F
	v_mul_f32_e32 v51, s64, v51                                // 000000017738: 0A666640
	v_exp_f32_e32 v51, v51                                     // 00000001773C: 7E664133
	s_waitcnt lgkmcnt(0)                                       // 000000017740: BF8CC07F
	s_barrier                                                  // 000000017744: BF8A0000
	ds_read_b32 v64, v7 offset:20992                           // 000000017748: D86C5200 40000007
	ds_read_b32 v65, v7 offset:21056                           // 000000017750: D86C5240 41000007
	ds_read_b32 v66, v7 offset:21120                           // 000000017758: D86C5280 42000007
	ds_read_b32 v67, v7 offset:21184                           // 000000017760: D86C52C0 43000007
	ds_read_b32 v68, v7 offset:21248                           // 000000017768: D86C5300 44000007
	ds_read_b32 v69, v7 offset:21312                           // 000000017770: D86C5340 45000007
	ds_read_b32 v70, v7 offset:21376                           // 000000017778: D86C5380 46000007
	ds_read_b32 v71, v7 offset:21440                           // 000000017780: D86C53C0 47000007
	ds_read_b32 v72, v7 offset:21504                           // 000000017788: D86C5400 48000007
	ds_read_b32 v73, v7 offset:21568                           // 000000017790: D86C5440 49000007
	ds_read_b32 v74, v7 offset:21632                           // 000000017798: D86C5480 4A000007
	ds_read_b32 v75, v7 offset:21696                           // 0000000177A0: D86C54C0 4B000007
	ds_read_b32 v76, v7 offset:21760                           // 0000000177A8: D86C5500 4C000007
	ds_read_b32 v77, v7 offset:21824                           // 0000000177B0: D86C5540 4D000007
	ds_read_b32 v78, v7 offset:21888                           // 0000000177B8: D86C5580 4E000007
	ds_read_b32 v79, v7 offset:21952                           // 0000000177C0: D86C55C0 4F000007
	v_mul_f32_e32 v40, v51, v40                                // 0000000177C8: 0A505133
	v_mov_b32_e32 v15, v144                                    // 0000000177CC: 7E1E0390
	v_add_f32_e32 v15, v145, v15                               // 0000000177D0: 021E1F91
	v_add_f32_e32 v15, v146, v15                               // 0000000177D4: 021E1F92
	v_add_f32_e32 v15, v147, v15                               // 0000000177D8: 021E1F93
	v_add_f32_e32 v15, v148, v15                               // 0000000177DC: 021E1F94
	v_add_f32_e32 v15, v149, v15                               // 0000000177E0: 021E1F95
	v_add_f32_e32 v15, v150, v15                               // 0000000177E4: 021E1F96
	v_add_f32_e32 v15, v151, v15                               // 0000000177E8: 021E1F97
	v_add_f32_e32 v15, v152, v15                               // 0000000177EC: 021E1F98
	v_add_f32_e32 v15, v153, v15                               // 0000000177F0: 021E1F99
	v_add_f32_e32 v15, v154, v15                               // 0000000177F4: 021E1F9A
	v_add_f32_e32 v15, v155, v15                               // 0000000177F8: 021E1F9B
	v_add_f32_e32 v15, v156, v15                               // 0000000177FC: 021E1F9C
	v_add_f32_e32 v15, v157, v15                               // 000000017800: 021E1F9D
	v_add_f32_e32 v15, v158, v15                               // 000000017804: 021E1F9E
	v_add_f32_e32 v15, v159, v15                               // 000000017808: 021E1F9F
	v_add_f32_e32 v40, v15, v40                                // 00000001780C: 0250510F
	s_waitcnt lgkmcnt(0)                                       // 000000017810: BF8CC07F
	v_max3_f32 v48, |v64|, |v65|, v48                          // 000000017814: D1D30330 04C28340
	v_max3_f32 v48, |v66|, |v67|, v48                          // 00000001781C: D1D30330 04C28742
	v_max3_f32 v48, |v68|, |v69|, v48                          // 000000017824: D1D30330 04C28B44
	v_max3_f32 v48, |v70|, |v71|, v48                          // 00000001782C: D1D30330 04C28F46
	v_max3_f32 v48, |v72|, |v73|, v48                          // 000000017834: D1D30330 04C29348
	v_max3_f32 v48, |v74|, |v75|, v48                          // 00000001783C: D1D30330 04C2974A
	v_max3_f32 v48, |v76|, |v77|, v48                          // 000000017844: D1D30330 04C29B4C
	v_max3_f32 v48, |v78|, |v79|, v48                          // 00000001784C: D1D30330 04C29F4E
	s_nop 2                                                    // 000000017854: BF800002
	v_rcp_f32_e32 v48, v48                                     // 000000017858: 7E604530
	s_nop 1                                                    // 00000001785C: BF800001
	v_mul_f32_e32 v48, 0x42fe0000, v48                         // 000000017860: 0A6060FF 42FE0000
	v_mul_f32_e32 v144, v48, v240                              // 000000017868: 0B21E130
	v_mul_f32_e32 v145, v48, v241                              // 00000001786C: 0B23E330
	v_mul_f32_e32 v146, v48, v242                              // 000000017870: 0B25E530
	v_mul_f32_e32 v147, v48, v243                              // 000000017874: 0B27E730
	v_mul_f32_e32 v148, v48, v244                              // 000000017878: 0B29E930
	v_mul_f32_e32 v149, v48, v245                              // 00000001787C: 0B2BEB30
	v_mul_f32_e32 v150, v48, v246                              // 000000017880: 0B2DED30
	v_mul_f32_e32 v151, v48, v247                              // 000000017884: 0B2FEF30
	v_mul_f32_e32 v152, v48, v248                              // 000000017888: 0B31F130
	v_mul_f32_e32 v153, v48, v249                              // 00000001788C: 0B33F330
	v_mul_f32_e32 v154, v48, v250                              // 000000017890: 0B35F530
	v_mul_f32_e32 v155, v48, v251                              // 000000017894: 0B37F730
	v_mul_f32_e32 v156, v48, v252                              // 000000017898: 0B39F930
	v_mul_f32_e32 v157, v48, v253                              // 00000001789C: 0B3BFB30
	v_mul_f32_e32 v158, v48, v254                              // 0000000178A0: 0B3DFD30
	v_mul_f32_e32 v159, v48, v255                              // 0000000178A4: 0B3FFF30
	v_cvt_i32_f32_e32 v144, v144                               // 0000000178A8: 7F201190
	v_cvt_i32_f32_e32 v145, v145                               // 0000000178AC: 7F221191
	v_cvt_i32_f32_e32 v146, v146                               // 0000000178B0: 7F241192
	v_cvt_i32_f32_e32 v147, v147                               // 0000000178B4: 7F261193
	v_cvt_i32_f32_e32 v148, v148                               // 0000000178B8: 7F281194
	v_cvt_i32_f32_e32 v149, v149                               // 0000000178BC: 7F2A1195
	v_cvt_i32_f32_e32 v150, v150                               // 0000000178C0: 7F2C1196
	v_cvt_i32_f32_e32 v151, v151                               // 0000000178C4: 7F2E1197
	v_cvt_i32_f32_e32 v152, v152                               // 0000000178C8: 7F301198
	v_cvt_i32_f32_e32 v153, v153                               // 0000000178CC: 7F321199
	v_cvt_i32_f32_e32 v154, v154                               // 0000000178D0: 7F34119A
	v_cvt_i32_f32_e32 v155, v155                               // 0000000178D4: 7F36119B
	v_cvt_i32_f32_e32 v156, v156                               // 0000000178D8: 7F38119C
	v_cvt_i32_f32_e32 v157, v157                               // 0000000178DC: 7F3A119D
	v_cvt_i32_f32_e32 v158, v158                               // 0000000178E0: 7F3C119E
	v_cvt_i32_f32_e32 v159, v159                               // 0000000178E4: 7F3E119F
	v_perm_b32 v144, v145, v144, s53                           // 0000000178E8: D1ED0090 00D72191
	v_perm_b32 v144, v146, v144, s54                           // 0000000178F0: D1ED0090 00DB2192
	v_perm_b32 v144, v147, v144, s55                           // 0000000178F8: D1ED0090 00DF2193
	v_perm_b32 v145, v149, v148, s53                           // 000000017900: D1ED0091 00D72995
	v_perm_b32 v145, v150, v145, s54                           // 000000017908: D1ED0091 00DB2396
	v_perm_b32 v145, v151, v145, s55                           // 000000017910: D1ED0091 00DF2397
	v_perm_b32 v146, v153, v152, s53                           // 000000017918: D1ED0092 00D73199
	v_perm_b32 v146, v154, v146, s54                           // 000000017920: D1ED0092 00DB259A
	v_perm_b32 v146, v155, v146, s55                           // 000000017928: D1ED0092 00DF259B
	v_perm_b32 v147, v157, v156, s53                           // 000000017930: D1ED0093 00D7399D
	v_perm_b32 v147, v158, v147, s54                           // 000000017938: D1ED0093 00DB279E
	v_perm_b32 v147, v159, v147, s55                           // 000000017940: D1ED0093 00DF279F
	ds_write_b32 v10, v144 offset:33280                        // 000000017948: D81A8200 0000900A
	ds_write_b32 v10, v145 offset:34304                        // 000000017950: D81A8600 0000910A
	ds_write_b32 v10, v146 offset:35328                        // 000000017958: D81A8A00 0000920A
	ds_write_b32 v10, v147 offset:36352                        // 000000017960: D81A8E00 0000930A
	v_add_f32_e32 v224, v224, v192                             // 000000017968: 03C181E0
	v_add_f32_e32 v225, v225, v193                             // 00000001796C: 03C383E1
	v_add_f32_e32 v226, v226, v194                             // 000000017970: 03C585E2
	v_add_f32_e32 v227, v227, v195                             // 000000017974: 03C787E3
	v_add_f32_e32 v228, v228, v196                             // 000000017978: 03C989E4
	v_add_f32_e32 v229, v229, v197                             // 00000001797C: 03CB8BE5
	v_add_f32_e32 v230, v230, v198                             // 000000017980: 03CD8DE6
	v_add_f32_e32 v231, v231, v199                             // 000000017984: 03CF8FE7
	v_rcp_f32_e32 v46, v48                                     // 000000017988: 7E5C4530
	s_waitcnt lgkmcnt(0)                                       // 00000001798C: BF8CC07F
	s_barrier                                                  // 000000017990: BF8A0000
	ds_read_b64 v[144:145], v9 offset:33280                    // 000000017994: D8EC8200 90000009
	ds_read_b64 v[146:147], v9 offset:33408                    // 00000001799C: D8EC8280 92000009
	ds_read_b64 v[148:149], v9 offset:34304                    // 0000000179A4: D8EC8600 94000009
	ds_read_b64 v[150:151], v9 offset:34432                    // 0000000179AC: D8EC8680 96000009
	ds_read_b64 v[152:153], v9 offset:35328                    // 0000000179B4: D8EC8A00 98000009
	ds_read_b64 v[154:155], v9 offset:35456                    // 0000000179BC: D8EC8A80 9A000009
	ds_read_b64 v[156:157], v9 offset:36352                    // 0000000179C4: D8EC8E00 9C000009
	ds_read_b64 v[158:159], v9 offset:36480                    // 0000000179CC: D8EC8E80 9E000009
	s_waitcnt vmcnt(15)                                        // 0000000179D4: BF8C0F7F
	v_mfma_i32_16x16x32_i8 v[176:179], a[64:65], v[112:113], 0 // 0000000179D8: D3D700B0 0A02E140
	buffer_load_dwordx4 a[112:115], v34, s[20:23], 0 offen offset:1024// 0000000179E0: E05C1400 80857022
	v_mfma_i32_16x16x32_i8 v[176:179], a[66:67], v[114:115], v[176:179]// 0000000179E8: D3D700B0 0EC2E542
	v_mfma_i32_16x16x32_i8 v[176:179], a[68:69], v[116:117], v[176:179]// 0000000179F0: D3D700B0 0EC2E944
	v_mfma_i32_16x16x32_i8 v[176:179], a[70:71], v[118:119], v[176:179]// 0000000179F8: D3D700B0 0EC2ED46
	v_mfma_i32_16x16x32_i8 v[176:179], a[72:73], v[120:121], v[176:179]// 000000017A00: D3D700B0 0EC2F148
	buffer_load_dwordx4 a[116:119], v35, s[20:23], 0 offen offset:1024// 000000017A08: E05C1400 80857423
	v_mfma_i32_16x16x32_i8 v[176:179], a[74:75], v[122:123], v[176:179]// 000000017A10: D3D700B0 0EC2F54A
	v_mfma_i32_16x16x32_i8 v[176:179], a[76:77], v[124:125], v[176:179]// 000000017A18: D3D700B0 0EC2F94C
	v_mfma_i32_16x16x32_i8 v[176:179], a[78:79], v[126:127], v[176:179]// 000000017A20: D3D700B0 0EC2FD4E
	v_mfma_i32_16x16x32_i8 v[180:183], a[80:81], v[112:113], 0 // 000000017A28: D3D700B4 0A02E150
	buffer_load_dwordx4 a[120:123], v36, s[20:23], 0 offen offset:1024// 000000017A30: E05C1400 80857824
	v_mfma_i32_16x16x32_i8 v[180:183], a[82:83], v[114:115], v[180:183]// 000000017A38: D3D700B4 0ED2E552
	v_mfma_i32_16x16x32_i8 v[180:183], a[84:85], v[116:117], v[180:183]// 000000017A40: D3D700B4 0ED2E954
	v_mfma_i32_16x16x32_i8 v[180:183], a[86:87], v[118:119], v[180:183]// 000000017A48: D3D700B4 0ED2ED56
	v_mfma_i32_16x16x32_i8 v[180:183], a[88:89], v[120:121], v[180:183]// 000000017A50: D3D700B4 0ED2F158
	buffer_load_dwordx4 a[124:127], v37, s[20:23], 0 offen offset:1024// 000000017A58: E05C1400 80857C25
	v_mfma_i32_16x16x32_i8 v[180:183], a[90:91], v[122:123], v[180:183]// 000000017A60: D3D700B4 0ED2F55A
	v_mfma_i32_16x16x32_i8 v[180:183], a[92:93], v[124:125], v[180:183]// 000000017A68: D3D700B4 0ED2F95C
	s_lshr_b32 s57, s70, 4                                     // 000000017A70: 8F398446
	s_add_u32 s57, 48, s57                                     // 000000017A74: 803939B0
	v_mfma_i32_16x16x32_i8 v[180:183], a[94:95], v[126:127], v[180:183]// 000000017A78: D3D700B4 0ED2FD5E
	s_cmp_ge_u32 s57, s73                                      // 000000017A80: BF094939
	s_cselect_b32 s56, 0, s56                                  // 000000017A84: 85383880
	v_mfma_i32_16x16x32_i8 v[184:187], a[64:65], v[128:129], 0 // 000000017A88: D3D700B8 0A030140
	v_mfma_i32_16x16x32_i8 v[184:187], a[66:67], v[130:131], v[184:187]// 000000017A90: D3D700B8 0EE30542
	v_mfma_i32_16x16x32_i8 v[184:187], a[68:69], v[132:133], v[184:187]// 000000017A98: D3D700B8 0EE30944
	v_mfma_i32_16x16x32_i8 v[184:187], a[70:71], v[134:135], v[184:187]// 000000017AA0: D3D700B8 0EE30D46
	v_mfma_i32_16x16x32_i8 v[184:187], a[72:73], v[136:137], v[184:187]// 000000017AA8: D3D700B8 0EE31148
	v_mfma_i32_16x16x32_i8 v[184:187], a[74:75], v[138:139], v[184:187]// 000000017AB0: D3D700B8 0EE3154A
	v_mfma_i32_16x16x32_i8 v[184:187], a[76:77], v[140:141], v[184:187]// 000000017AB8: D3D700B8 0EE3194C
	v_mfma_i32_16x16x32_i8 v[184:187], a[78:79], v[142:143], v[184:187]// 000000017AC0: D3D700B8 0EE31D4E
	v_mfma_i32_16x16x32_i8 v[188:191], a[80:81], v[128:129], 0 // 000000017AC8: D3D700BC 0A030150
	v_mfma_i32_16x16x32_i8 v[188:191], a[82:83], v[130:131], v[188:191]// 000000017AD0: D3D700BC 0EF30552
	v_mfma_i32_16x16x32_i8 v[188:191], a[84:85], v[132:133], v[188:191]// 000000017AD8: D3D700BC 0EF30954
	v_mfma_i32_16x16x32_i8 v[188:191], a[86:87], v[134:135], v[188:191]// 000000017AE0: D3D700BC 0EF30D56
	v_mfma_i32_16x16x32_i8 v[188:191], a[88:89], v[136:137], v[188:191]// 000000017AE8: D3D700BC 0EF31158
	v_mfma_i32_16x16x32_i8 v[188:191], a[90:91], v[138:139], v[188:191]// 000000017AF0: D3D700BC 0EF3155A
	v_mfma_i32_16x16x32_i8 v[188:191], a[92:93], v[140:141], v[188:191]// 000000017AF8: D3D700BC 0EF3195C
	v_mfma_i32_16x16x32_i8 v[188:191], a[94:95], v[142:143], v[188:191]// 000000017B00: D3D700BC 0EF31D5E
	v_mfma_i32_16x16x32_i8 v[192:195], a[64:65], v[144:145], 0 // 000000017B08: D3D700C0 0A032140
	v_mfma_i32_16x16x32_i8 v[192:195], a[66:67], v[146:147], v[192:195]// 000000017B10: D3D700C0 0F032542
	v_mfma_i32_16x16x32_i8 v[192:195], a[68:69], v[148:149], v[192:195]// 000000017B18: D3D700C0 0F032944
	v_mfma_i32_16x16x32_i8 v[192:195], a[70:71], v[150:151], v[192:195]// 000000017B20: D3D700C0 0F032D46
	v_mfma_i32_16x16x32_i8 v[192:195], a[72:73], v[152:153], v[192:195]// 000000017B28: D3D700C0 0F033148
	v_mfma_i32_16x16x32_i8 v[192:195], a[74:75], v[154:155], v[192:195]// 000000017B30: D3D700C0 0F03354A
	v_mfma_i32_16x16x32_i8 v[192:195], a[76:77], v[156:157], v[192:195]// 000000017B38: D3D700C0 0F03394C
	v_mfma_i32_16x16x32_i8 v[192:195], a[78:79], v[158:159], v[192:195]// 000000017B40: D3D700C0 0F033D4E
	v_mfma_i32_16x16x32_i8 v[196:199], a[80:81], v[144:145], 0 // 000000017B48: D3D700C4 0A032150
	v_mfma_i32_16x16x32_i8 v[196:199], a[82:83], v[146:147], v[196:199]// 000000017B50: D3D700C4 0F132552
	v_mfma_i32_16x16x32_i8 v[196:199], a[84:85], v[148:149], v[196:199]// 000000017B58: D3D700C4 0F132954
	v_mfma_i32_16x16x32_i8 v[196:199], a[86:87], v[150:151], v[196:199]// 000000017B60: D3D700C4 0F132D56
	v_mfma_i32_16x16x32_i8 v[196:199], a[88:89], v[152:153], v[196:199]// 000000017B68: D3D700C4 0F133158
	v_mfma_i32_16x16x32_i8 v[196:199], a[90:91], v[154:155], v[196:199]// 000000017B70: D3D700C4 0F13355A
	v_mfma_i32_16x16x32_i8 v[196:199], a[92:93], v[156:157], v[196:199]// 000000017B78: D3D700C4 0F13395C
	v_mfma_i32_16x16x32_i8 v[196:199], a[94:95], v[158:159], v[196:199]// 000000017B80: D3D700C4 0F133D5E
	v_add_u32_e32 v1, s56, v1                                  // 000000017B88: 68020238
	s_addk_i32 s70, 0x100                                      // 000000017B8C: B7460100
	s_cmp_lt_i32 s70, s71                                      // 000000017B90: BF044746
	s_cbranch_scc0 label_4E43                                  // 000000017B94: BF84F7DD
	s_waitcnt vmcnt(8) lgkmcnt(0)                              // 000000017B98: BF8C0078
	v_mul_u32_u24_dpp v64, v16, v54 row_newbcast:0 row_mask:0xf bank_mask:0xf// 000000017B9C: 10806CFA FF015010
	v_mul_u32_u24_dpp v65, v16, v54 row_newbcast:4 row_mask:0xf bank_mask:0xf// 000000017BA4: 10826CFA FF015410
	v_mul_u32_u24_dpp v66, v16, v54 row_newbcast:8 row_mask:0xf bank_mask:0xf// 000000017BAC: 10846CFA FF015810
	v_mul_u32_u24_dpp v67, v16, v54 row_newbcast:12 row_mask:0xf bank_mask:0xf// 000000017BB4: 10866CFA FF015C10
	v_add_u32_e32 v22, v64, v5                                 // 000000017BBC: 682C0B40
	v_add_u32_e32 v23, v65, v5                                 // 000000017BC0: 682E0B41
	v_add_u32_e32 v24, v66, v5                                 // 000000017BC4: 68300B42
	v_add_u32_e32 v25, v67, v5                                 // 000000017BC8: 68320B43
	v_mul_u32_u24_dpp v64, v16, v63 quad_perm:[0,0,0,0] row_mask:0xf bank_mask:0xf// 000000017BCC: 10807EFA FF000010
	v_add_u32_e32 v2, v64, v59                                 // 000000017BD4: 68047740
	v_mul_u32_u24_dpp v64, v16, v63 quad_perm:[0,0,0,0] row_mask:0xf bank_mask:0xf// 000000017BD8: 10807EFA FF000010
	v_add_u32_e32 v55, v64, v60                                // 000000017BE0: 686E7940
	v_mfma_i32_16x16x32_i8 v[112:115], a[32:33], v[80:81], 0   // 000000017BE4: D3D70070 0A02A120
	buffer_load_dwordx4 a[0:3], v22, s[16:19], 0 offen         // 000000017BEC: E05C1000 80840016
	v_mfma_i32_16x16x32_i8 v[112:115], a[34:35], v[82:83], v[112:115]// 000000017BF4: D3D70070 0DC2A522
	v_mfma_i32_16x16x32_i8 v[112:115], a[36:37], v[84:85], v[112:115]// 000000017BFC: D3D70070 0DC2A924
	buffer_load_dword v17, v1, s[24:27], 0 offen               // 000000017C04: E0501000 80061101
	v_mfma_i32_16x16x32_i8 v[112:115], a[38:39], v[86:87], v[112:115]// 000000017C0C: D3D70070 0DC2AD26
	v_mfma_i32_16x16x32_i8 v[116:119], a[40:41], v[80:81], 0   // 000000017C14: D3D70074 0A02A128
	buffer_load_dwordx4 a[4:7], v22, s[16:19], 0 offen offset:1024// 000000017C1C: E05C1400 80840416
	v_mfma_i32_16x16x32_i8 v[116:119], a[42:43], v[82:83], v[116:119]// 000000017C24: D3D70074 0DD2A52A
	v_mfma_i32_16x16x32_i8 v[116:119], a[44:45], v[84:85], v[116:119]// 000000017C2C: D3D70074 0DD2A92C
	v_mfma_i32_16x16x32_i8 v[116:119], a[46:47], v[86:87], v[116:119]// 000000017C34: D3D70074 0DD2AD2E
	v_mfma_i32_16x16x32_i8 v[120:123], a[48:49], v[80:81], 0   // 000000017C3C: D3D70078 0A02A130
	buffer_load_dwordx4 a[8:11], v23, s[16:19], 0 offen        // 000000017C44: E05C1000 80840817
	v_mfma_i32_16x16x32_i8 v[120:123], a[50:51], v[82:83], v[120:123]// 000000017C4C: D3D70078 0DE2A532
	v_mfma_i32_16x16x32_i8 v[120:123], a[52:53], v[84:85], v[120:123]// 000000017C54: D3D70078 0DE2A934
	v_mfma_i32_16x16x32_i8 v[120:123], a[54:55], v[86:87], v[120:123]// 000000017C5C: D3D70078 0DE2AD36
	v_mfma_i32_16x16x32_i8 v[124:127], a[56:57], v[80:81], 0   // 000000017C64: D3D7007C 0A02A138
	buffer_load_dwordx4 a[12:15], v23, s[16:19], 0 offen offset:1024// 000000017C6C: E05C1400 80840C17
	v_mfma_i32_16x16x32_i8 v[124:127], a[58:59], v[82:83], v[124:127]// 000000017C74: D3D7007C 0DF2A53A
	v_mfma_i32_16x16x32_i8 v[124:127], a[60:61], v[84:85], v[124:127]// 000000017C7C: D3D7007C 0DF2A93C
	v_mfma_i32_16x16x32_i8 v[124:127], a[62:63], v[86:87], v[124:127]// 000000017C84: D3D7007C 0DF2AD3E
	v_mfma_i32_16x16x32_i8 v[128:131], a[32:33], v[88:89], 0   // 000000017C8C: D3D70080 0A02B120
	v_mfma_i32_16x16x32_i8 v[128:131], a[34:35], v[90:91], v[128:131]// 000000017C94: D3D70080 0E02B522
	v_mfma_i32_16x16x32_i8 v[128:131], a[36:37], v[92:93], v[128:131]// 000000017C9C: D3D70080 0E02B924
	v_mfma_i32_16x16x32_i8 v[128:131], a[38:39], v[94:95], v[128:131]// 000000017CA4: D3D70080 0E02BD26
	v_mfma_i32_16x16x32_i8 v[132:135], a[40:41], v[88:89], 0   // 000000017CAC: D3D70084 0A02B128
	v_mfma_i32_16x16x32_i8 v[132:135], a[42:43], v[90:91], v[132:135]// 000000017CB4: D3D70084 0E12B52A
	v_mfma_i32_16x16x32_i8 v[132:135], a[44:45], v[92:93], v[132:135]// 000000017CBC: D3D70084 0E12B92C
	v_mfma_i32_16x16x32_i8 v[132:135], a[46:47], v[94:95], v[132:135]// 000000017CC4: D3D70084 0E12BD2E
	v_mfma_i32_16x16x32_i8 v[136:139], a[48:49], v[88:89], 0   // 000000017CCC: D3D70088 0A02B130
	v_mfma_i32_16x16x32_i8 v[136:139], a[50:51], v[90:91], v[136:139]// 000000017CD4: D3D70088 0E22B532
	v_mfma_i32_16x16x32_i8 v[136:139], a[52:53], v[92:93], v[136:139]// 000000017CDC: D3D70088 0E22B934
	v_mfma_i32_16x16x32_i8 v[136:139], a[54:55], v[94:95], v[136:139]// 000000017CE4: D3D70088 0E22BD36
	v_mfma_i32_16x16x32_i8 v[140:143], a[56:57], v[88:89], 0   // 000000017CEC: D3D7008C 0A02B138
	v_mfma_i32_16x16x32_i8 v[140:143], a[58:59], v[90:91], v[140:143]// 000000017CF4: D3D7008C 0E32B53A
	v_mfma_i32_16x16x32_i8 v[140:143], a[60:61], v[92:93], v[140:143]// 000000017CFC: D3D7008C 0E32B93C
	v_mfma_i32_16x16x32_i8 v[140:143], a[62:63], v[94:95], v[140:143]// 000000017D04: D3D7008C 0E32BD3E
	v_mfma_i32_16x16x32_i8 v[144:147], a[32:33], v[96:97], 0   // 000000017D0C: D3D70090 0A02C120
	v_mfma_i32_16x16x32_i8 v[144:147], a[34:35], v[98:99], v[144:147]// 000000017D14: D3D70090 0E42C522
	v_mfma_i32_16x16x32_i8 v[144:147], a[36:37], v[100:101], v[144:147]// 000000017D1C: D3D70090 0E42C924
	v_mfma_i32_16x16x32_i8 v[144:147], a[38:39], v[102:103], v[144:147]// 000000017D24: D3D70090 0E42CD26
	v_mfma_i32_16x16x32_i8 v[148:151], a[40:41], v[96:97], 0   // 000000017D2C: D3D70094 0A02C128
	v_mfma_i32_16x16x32_i8 v[148:151], a[42:43], v[98:99], v[148:151]// 000000017D34: D3D70094 0E52C52A
	v_mfma_i32_16x16x32_i8 v[148:151], a[44:45], v[100:101], v[148:151]// 000000017D3C: D3D70094 0E52C92C
	v_mfma_i32_16x16x32_i8 v[148:151], a[46:47], v[102:103], v[148:151]// 000000017D44: D3D70094 0E52CD2E
	v_mfma_i32_16x16x32_i8 v[152:155], a[48:49], v[96:97], 0   // 000000017D4C: D3D70098 0A02C130
	v_mfma_i32_16x16x32_i8 v[152:155], a[50:51], v[98:99], v[152:155]// 000000017D54: D3D70098 0E62C532
	v_mfma_i32_16x16x32_i8 v[152:155], a[52:53], v[100:101], v[152:155]// 000000017D5C: D3D70098 0E62C934
	v_mfma_i32_16x16x32_i8 v[152:155], a[54:55], v[102:103], v[152:155]// 000000017D64: D3D70098 0E62CD36
	v_mfma_i32_16x16x32_i8 v[156:159], a[56:57], v[96:97], 0   // 000000017D6C: D3D7009C 0A02C138
	v_mfma_i32_16x16x32_i8 v[156:159], a[58:59], v[98:99], v[156:159]// 000000017D74: D3D7009C 0E72C53A
	v_mfma_i32_16x16x32_i8 v[156:159], a[60:61], v[100:101], v[156:159]// 000000017D7C: D3D7009C 0E72C93C
	v_mfma_i32_16x16x32_i8 v[156:159], a[62:63], v[102:103], v[156:159]// 000000017D84: D3D7009C 0E72CD3E
	buffer_load_dword v42, v2, s[32:35], 0 offen               // 000000017D8C: E0501000 80082A02
	v_mov_b32_dpp v64, v43 row_shr:4 row_mask:0xf bank_mask:0xf// 000000017D94: 7E8002FA FF01142B
	v_mov_b32_dpp v65, v43 row_shl:4 row_mask:0xf bank_mask:0xf// 000000017D9C: 7E8202FA FF01042B
	v_cndmask_b32_e64 v248, v43, v64, s[44:45]                 // 000000017DA4: D10000F8 00B2812B
	v_cndmask_b32_e64 v249, v65, v43, s[44:45]                 // 000000017DAC: D10000F9 00B25741
	v_mov_b32_dpp v64, v248 row_shr:8 row_mask:0xf bank_mask:0xf// 000000017DB4: 7E8002FA FF0118F8
	v_mov_b32_dpp v65, v248 row_shl:8 row_mask:0xf bank_mask:0xf// 000000017DBC: 7E8202FA FF0108F8
	v_mov_b32_dpp v66, v249 row_shr:8 row_mask:0xf bank_mask:0xf// 000000017DC4: 7E8402FA FF0118F9
	v_mov_b32_dpp v67, v249 row_shl:8 row_mask:0xf bank_mask:0xf// 000000017DCC: 7E8602FA FF0108F9
	v_mov_b32_e32 v68, v248                                    // 000000017DD4: 7E8803F8
	v_mov_b32_e32 v69, v249                                    // 000000017DD8: 7E8A03F9
	v_cndmask_b32_e64 v248, v68, v64, s[42:43]                 // 000000017DDC: D10000F8 00AA8144
	v_cndmask_b32_e64 v250, v68, v65, s[78:79]                 // 000000017DE4: D10000FA 013A8344
	v_cndmask_b32_e64 v249, v69, v66, s[42:43]                 // 000000017DEC: D10000F9 00AA8545
	v_cndmask_b32_e64 v251, v69, v67, s[78:79]                 // 000000017DF4: D10000FB 013A8745
	v_mov_b32_dpp v64, v58 row_shr:4 row_mask:0xf bank_mask:0xf// 000000017DFC: 7E8002FA FF01143A
	v_mov_b32_dpp v65, v58 row_shl:4 row_mask:0xf bank_mask:0xf// 000000017E04: 7E8202FA FF01043A
	v_cndmask_b32_e64 v252, v58, v64, s[44:45]                 // 000000017E0C: D10000FC 00B2813A
	v_cndmask_b32_e64 v253, v65, v58, s[44:45]                 // 000000017E14: D10000FD 00B27541
	v_mov_b32_dpp v64, v252 row_shr:8 row_mask:0xf bank_mask:0xf// 000000017E1C: 7E8002FA FF0118FC
	v_mov_b32_dpp v65, v252 row_shl:8 row_mask:0xf bank_mask:0xf// 000000017E24: 7E8202FA FF0108FC
	v_mov_b32_dpp v66, v253 row_shr:8 row_mask:0xf bank_mask:0xf// 000000017E2C: 7E8402FA FF0118FD
	v_mov_b32_dpp v67, v253 row_shl:8 row_mask:0xf bank_mask:0xf// 000000017E34: 7E8602FA FF0108FD
	v_mov_b32_e32 v68, v252                                    // 000000017E3C: 7E8803FC
	v_mov_b32_e32 v69, v253                                    // 000000017E40: 7E8A03FD
	v_cndmask_b32_e64 v252, v68, v64, s[42:43]                 // 000000017E44: D10000FC 00AA8144
	v_cndmask_b32_e64 v254, v68, v65, s[78:79]                 // 000000017E4C: D10000FE 013A8344
	v_cndmask_b32_e64 v253, v69, v66, s[42:43]                 // 000000017E54: D10000FD 00AA8545
	v_cndmask_b32_e64 v255, v69, v67, s[78:79]                 // 000000017E5C: D10000FF 013A8745
	buffer_load_dword v57, v55, s[36:39], 0 offen              // 000000017E64: E0501000 80093937
	v_cvt_f32_i32_e32 v112, v112                               // 000000017E6C: 7EE00B70
	v_cvt_f32_i32_e32 v113, v113                               // 000000017E70: 7EE20B71
	v_cvt_f32_i32_e32 v114, v114                               // 000000017E74: 7EE40B72
	v_cvt_f32_i32_e32 v115, v115                               // 000000017E78: 7EE60B73
	v_cvt_f32_i32_e32 v116, v116                               // 000000017E7C: 7EE80B74
	v_cvt_f32_i32_e32 v117, v117                               // 000000017E80: 7EEA0B75
	v_cvt_f32_i32_e32 v118, v118                               // 000000017E84: 7EEC0B76
	v_cvt_f32_i32_e32 v119, v119                               // 000000017E88: 7EEE0B77
	v_cvt_f32_i32_e32 v120, v120                               // 000000017E8C: 7EF00B78
	v_cvt_f32_i32_e32 v121, v121                               // 000000017E90: 7EF20B79
	v_cvt_f32_i32_e32 v122, v122                               // 000000017E94: 7EF40B7A
	v_cvt_f32_i32_e32 v123, v123                               // 000000017E98: 7EF60B7B
	v_cvt_f32_i32_e32 v124, v124                               // 000000017E9C: 7EF80B7C
	v_cvt_f32_i32_e32 v125, v125                               // 000000017EA0: 7EFA0B7D
	v_cvt_f32_i32_e32 v126, v126                               // 000000017EA4: 7EFC0B7E
	v_cvt_f32_i32_e32 v127, v127                               // 000000017EA8: 7EFE0B7F
	v_mul_f32_e32 v112, v18, v112                              // 000000017EAC: 0AE0E112
	v_mul_f32_e32 v113, v18, v113                              // 000000017EB0: 0AE2E312
	v_mul_f32_e32 v114, v18, v114                              // 000000017EB4: 0AE4E512
	v_mul_f32_e32 v115, v18, v115                              // 000000017EB8: 0AE6E712
	v_mul_f32_e32 v116, v18, v116                              // 000000017EBC: 0AE8E912
	v_mul_f32_e32 v117, v18, v117                              // 000000017EC0: 0AEAEB12
	v_mul_f32_e32 v118, v18, v118                              // 000000017EC4: 0AECED12
	v_mul_f32_e32 v119, v18, v119                              // 000000017EC8: 0AEEEF12
	v_mul_f32_e32 v120, v18, v120                              // 000000017ECC: 0AF0F112
	v_mul_f32_e32 v121, v18, v121                              // 000000017ED0: 0AF2F312
	v_mul_f32_e32 v122, v18, v122                              // 000000017ED4: 0AF4F512
	v_mul_f32_e32 v123, v18, v123                              // 000000017ED8: 0AF6F712
	v_mul_f32_e32 v124, v18, v124                              // 000000017EDC: 0AF8F912
	v_mul_f32_e32 v125, v18, v125                              // 000000017EE0: 0AFAFB12
	v_mul_f32_e32 v126, v18, v126                              // 000000017EE4: 0AFCFD12
	v_mul_f32_e32 v127, v18, v127                              // 000000017EE8: 0AFEFF12
	buffer_load_dwordx4 a[16:19], v24, s[16:19], 0 offen       // 000000017EEC: E05C1000 80841018
	v_mul_f32_dpp v112, v248, v112 quad_perm:[0,0,0,0] row_mask:0xf bank_mask:0xf// 000000017EF4: 0AE0E0FA FF0000F8
	v_mul_f32_dpp v113, v248, v113 quad_perm:[1,1,1,1] row_mask:0xf bank_mask:0xf// 000000017EFC: 0AE2E2FA FF0055F8
	v_mul_f32_dpp v114, v248, v114 quad_perm:[2,2,2,2] row_mask:0xf bank_mask:0xf// 000000017F04: 0AE4E4FA FF00AAF8
	v_mul_f32_dpp v115, v248, v115 quad_perm:[3,3,3,3] row_mask:0xf bank_mask:0xf// 000000017F0C: 0AE6E6FA FF00FFF8
	v_mul_f32_dpp v116, v249, v116 quad_perm:[0,0,0,0] row_mask:0xf bank_mask:0xf// 000000017F14: 0AE8E8FA FF0000F9
	v_mul_f32_dpp v117, v249, v117 quad_perm:[1,1,1,1] row_mask:0xf bank_mask:0xf// 000000017F1C: 0AEAEAFA FF0055F9
	v_mul_f32_dpp v118, v249, v118 quad_perm:[2,2,2,2] row_mask:0xf bank_mask:0xf// 000000017F24: 0AECECFA FF00AAF9
	v_mul_f32_dpp v119, v249, v119 quad_perm:[3,3,3,3] row_mask:0xf bank_mask:0xf// 000000017F2C: 0AEEEEFA FF00FFF9
	v_mul_f32_dpp v120, v250, v120 quad_perm:[0,0,0,0] row_mask:0xf bank_mask:0xf// 000000017F34: 0AF0F0FA FF0000FA
	v_mul_f32_dpp v121, v250, v121 quad_perm:[1,1,1,1] row_mask:0xf bank_mask:0xf// 000000017F3C: 0AF2F2FA FF0055FA
	v_mul_f32_dpp v122, v250, v122 quad_perm:[2,2,2,2] row_mask:0xf bank_mask:0xf// 000000017F44: 0AF4F4FA FF00AAFA
	v_mul_f32_dpp v123, v250, v123 quad_perm:[3,3,3,3] row_mask:0xf bank_mask:0xf// 000000017F4C: 0AF6F6FA FF00FFFA
	v_mul_f32_dpp v124, v251, v124 quad_perm:[0,0,0,0] row_mask:0xf bank_mask:0xf// 000000017F54: 0AF8F8FA FF0000FB
	v_mul_f32_dpp v125, v251, v125 quad_perm:[1,1,1,1] row_mask:0xf bank_mask:0xf// 000000017F5C: 0AFAFAFA FF0055FB
	v_mul_f32_dpp v126, v251, v126 quad_perm:[2,2,2,2] row_mask:0xf bank_mask:0xf// 000000017F64: 0AFCFCFA FF00AAFB
	v_mul_f32_dpp v127, v251, v127 quad_perm:[3,3,3,3] row_mask:0xf bank_mask:0xf// 000000017F6C: 0AFEFEFA FF00FFFB
	buffer_load_dwordx4 a[20:23], v24, s[16:19], 0 offen offset:1024// 000000017F74: E05C1400 80841418
	s_cmp_le_i32 s90, s89                                      // 000000017F7C: BF05595A
	s_cbranch_scc1 label_57D2                                  // 000000017F80: BF850071
	v_mov_b32_e32 v66, 0xff800000                              // 000000017F84: 7E8402FF FF800000
	s_mov_b32 s60, s90                                         // 000000017F8C: BEBC005A
	s_add_u32 s61, s89, 0xff                                   // 000000017F90: 803DFF59 000000FF
	v_mov_b32_e32 v64, s61                                     // 000000017F98: 7E80023D
	v_lshrrev_b32_e32 v240, 4, v0                              // 000000017F9C: 21E00084
	v_mul_i32_i24_e32 v240, 4, v240                            // 000000017FA0: 0DE1E084
	v_add_u32_e32 v240, s60, v240                              // 000000017FA4: 69E1E03C
	s_mov_b32 s61, 0                                           // 000000017FA8: BEBD0080
	s_mul_i32 s60, 16, s7                                      // 000000017FAC: 923C0790
	v_sub_u32_e64 v240, v240, s61                              // 000000017FB0: D13500F0 00007BF0
	v_add_u32_e32 v240, s60, v240                              // 000000017FB8: 69E1E03C
	v_add_u32_e32 v241, 1, v240                                // 000000017FBC: 69E3E081
	v_add_u32_e32 v242, 2, v240                                // 000000017FC0: 69E5E082
	v_add_u32_e32 v243, 3, v240                                // 000000017FC4: 69E7E083
	v_cmp_le_u32_e64 s[40:41], v240, v64                       // 000000017FC8: D0CB0028 000281F0
	v_add_u32_e32 v240, 64, v240                               // 000000017FD0: 69E1E0C0
	s_nop 0                                                    // 000000017FD4: BF800000
	v_cndmask_b32_e64 v112, v66, v112, s[40:41]                // 000000017FD8: D1000070 00A2E142
	v_cmp_le_u32_e64 s[40:41], v241, v64                       // 000000017FE0: D0CB0028 000281F1
	v_add_u32_e32 v241, 64, v241                               // 000000017FE8: 69E3E2C0
	s_nop 0                                                    // 000000017FEC: BF800000
	v_cndmask_b32_e64 v113, v66, v113, s[40:41]                // 000000017FF0: D1000071 00A2E342
	v_cmp_le_u32_e64 s[40:41], v242, v64                       // 000000017FF8: D0CB0028 000281F2
	v_add_u32_e32 v242, 64, v242                               // 000000018000: 69E5E4C0
	s_nop 0                                                    // 000000018004: BF800000
	v_cndmask_b32_e64 v114, v66, v114, s[40:41]                // 000000018008: D1000072 00A2E542
	v_cmp_le_u32_e64 s[40:41], v243, v64                       // 000000018010: D0CB0028 000281F3
	v_add_u32_e32 v243, 64, v243                               // 000000018018: 69E7E6C0
	s_nop 0                                                    // 00000001801C: BF800000
	v_cndmask_b32_e64 v115, v66, v115, s[40:41]                // 000000018020: D1000073 00A2E742
	v_cmp_le_u32_e64 s[40:41], v240, v64                       // 000000018028: D0CB0028 000281F0
	v_add_u32_e32 v240, 64, v240                               // 000000018030: 69E1E0C0
	s_nop 0                                                    // 000000018034: BF800000
	v_cndmask_b32_e64 v116, v66, v116, s[40:41]                // 000000018038: D1000074 00A2E942
	v_cmp_le_u32_e64 s[40:41], v241, v64                       // 000000018040: D0CB0028 000281F1
	v_add_u32_e32 v241, 64, v241                               // 000000018048: 69E3E2C0
	s_nop 0                                                    // 00000001804C: BF800000
	v_cndmask_b32_e64 v117, v66, v117, s[40:41]                // 000000018050: D1000075 00A2EB42
	v_cmp_le_u32_e64 s[40:41], v242, v64                       // 000000018058: D0CB0028 000281F2
	v_add_u32_e32 v242, 64, v242                               // 000000018060: 69E5E4C0
	s_nop 0                                                    // 000000018064: BF800000
	v_cndmask_b32_e64 v118, v66, v118, s[40:41]                // 000000018068: D1000076 00A2ED42
	v_cmp_le_u32_e64 s[40:41], v243, v64                       // 000000018070: D0CB0028 000281F3
	v_add_u32_e32 v243, 64, v243                               // 000000018078: 69E7E6C0
	s_nop 0                                                    // 00000001807C: BF800000
	v_cndmask_b32_e64 v119, v66, v119, s[40:41]                // 000000018080: D1000077 00A2EF42
	v_cmp_le_u32_e64 s[40:41], v240, v64                       // 000000018088: D0CB0028 000281F0
	v_add_u32_e32 v240, 64, v240                               // 000000018090: 69E1E0C0
	s_nop 0                                                    // 000000018094: BF800000
	v_cndmask_b32_e64 v120, v66, v120, s[40:41]                // 000000018098: D1000078 00A2F142
	v_cmp_le_u32_e64 s[40:41], v241, v64                       // 0000000180A0: D0CB0028 000281F1
	v_add_u32_e32 v241, 64, v241                               // 0000000180A8: 69E3E2C0
	s_nop 0                                                    // 0000000180AC: BF800000
	v_cndmask_b32_e64 v121, v66, v121, s[40:41]                // 0000000180B0: D1000079 00A2F342
	v_cmp_le_u32_e64 s[40:41], v242, v64                       // 0000000180B8: D0CB0028 000281F2
	v_add_u32_e32 v242, 64, v242                               // 0000000180C0: 69E5E4C0
	s_nop 0                                                    // 0000000180C4: BF800000
	v_cndmask_b32_e64 v122, v66, v122, s[40:41]                // 0000000180C8: D100007A 00A2F542
	v_cmp_le_u32_e64 s[40:41], v243, v64                       // 0000000180D0: D0CB0028 000281F3
	v_add_u32_e32 v243, 64, v243                               // 0000000180D8: 69E7E6C0
	s_nop 0                                                    // 0000000180DC: BF800000
	v_cndmask_b32_e64 v123, v66, v123, s[40:41]                // 0000000180E0: D100007B 00A2F742
	v_cmp_le_u32_e64 s[40:41], v240, v64                       // 0000000180E8: D0CB0028 000281F0
	v_add_u32_e32 v240, 64, v240                               // 0000000180F0: 69E1E0C0
	s_nop 0                                                    // 0000000180F4: BF800000
	v_cndmask_b32_e64 v124, v66, v124, s[40:41]                // 0000000180F8: D100007C 00A2F942
	v_cmp_le_u32_e64 s[40:41], v241, v64                       // 000000018100: D0CB0028 000281F1
	v_add_u32_e32 v241, 64, v241                               // 000000018108: 69E3E2C0
	s_nop 0                                                    // 00000001810C: BF800000
	v_cndmask_b32_e64 v125, v66, v125, s[40:41]                // 000000018110: D100007D 00A2FB42
	v_cmp_le_u32_e64 s[40:41], v242, v64                       // 000000018118: D0CB0028 000281F2
	v_add_u32_e32 v242, 64, v242                               // 000000018120: 69E5E4C0
	s_nop 0                                                    // 000000018124: BF800000
	v_cndmask_b32_e64 v126, v66, v126, s[40:41]                // 000000018128: D100007E 00A2FD42
	v_cmp_le_u32_e64 s[40:41], v243, v64                       // 000000018130: D0CB0028 000281F3
	v_add_u32_e32 v243, 64, v243                               // 000000018138: 69E7E6C0
	s_nop 0                                                    // 00000001813C: BF800000
	v_cndmask_b32_e64 v127, v66, v127, s[40:41]                // 000000018140: D100007F 00A2FF42

0000000000018148 <label_57D2>:
	v_mov_b32_e32 v48, v112                                    // 000000018148: 7E600370
	v_max3_f32 v48, v112, v113, v48                            // 00000001814C: D1D30030 04C2E370
	v_max3_f32 v48, v114, v115, v48                            // 000000018154: D1D30030 04C2E772
	v_max3_f32 v48, v116, v117, v48                            // 00000001815C: D1D30030 04C2EB74
	v_max3_f32 v48, v118, v119, v48                            // 000000018164: D1D30030 04C2EF76
	v_max3_f32 v48, v120, v121, v48                            // 00000001816C: D1D30030 04C2F378
	v_max3_f32 v48, v122, v123, v48                            // 000000018174: D1D30030 04C2F77A
	v_max3_f32 v48, v124, v125, v48                            // 00000001817C: D1D30030 04C2FB7C
	v_max3_f32 v48, v126, v127, v48                            // 000000018184: D1D30030 04C2FF7E
	ds_write_b32 v8, v48 offset:16896                          // 00000001818C: D81A4200 00003008
	buffer_load_dwordx4 a[24:27], v25, s[16:19], 0 offen       // 000000018194: E05C1000 80841819
	v_mul_u32_u24_dpp v64, v16, v54 row_newbcast:1 row_mask:0xf bank_mask:0xf// 00000001819C: 10806CFA FF015110
	v_mul_u32_u24_dpp v65, v16, v54 row_newbcast:5 row_mask:0xf bank_mask:0xf// 0000000181A4: 10826CFA FF015510
	v_mul_u32_u24_dpp v66, v16, v54 row_newbcast:9 row_mask:0xf bank_mask:0xf// 0000000181AC: 10846CFA FF015910
	v_mul_u32_u24_dpp v67, v16, v54 row_newbcast:13 row_mask:0xf bank_mask:0xf// 0000000181B4: 10866CFA FF015D10
	v_add_u32_e32 v30, v64, v6                                 // 0000000181BC: 683C0D40
	v_add_u32_e32 v31, v65, v6                                 // 0000000181C0: 683E0D41
	v_add_u32_e32 v32, v66, v6                                 // 0000000181C4: 68400D42
	v_add_u32_e32 v33, v67, v6                                 // 0000000181C8: 68420D43
	v_mul_f32_e32 v208, v49, v208                              // 0000000181CC: 0BA1A131
	v_mul_f32_e32 v209, v49, v209                              // 0000000181D0: 0BA3A331
	v_mul_f32_e32 v210, v49, v210                              // 0000000181D4: 0BA5A531
	v_mul_f32_e32 v211, v49, v211                              // 0000000181D8: 0BA7A731
	v_mul_f32_e32 v212, v49, v212                              // 0000000181DC: 0BA9A931
	v_mul_f32_e32 v213, v49, v213                              // 0000000181E0: 0BABAB31
	v_mul_f32_e32 v214, v49, v214                              // 0000000181E4: 0BADAD31
	v_mul_f32_e32 v215, v49, v215                              // 0000000181E8: 0BAFAF31
	s_waitcnt lgkmcnt(0)                                       // 0000000181EC: BF8CC07F
	s_barrier                                                  // 0000000181F0: BF8A0000
	ds_read_b32 v64, v7 offset:16896                           // 0000000181F4: D86C4200 40000007
	ds_read_b32 v65, v7 offset:16960                           // 0000000181FC: D86C4240 41000007
	ds_read_b32 v66, v7 offset:17024                           // 000000018204: D86C4280 42000007
	ds_read_b32 v67, v7 offset:17088                           // 00000001820C: D86C42C0 43000007
	ds_read_b32 v68, v7 offset:17152                           // 000000018214: D86C4300 44000007
	ds_read_b32 v69, v7 offset:17216                           // 00000001821C: D86C4340 45000007
	ds_read_b32 v70, v7 offset:17280                           // 000000018224: D86C4380 46000007
	ds_read_b32 v71, v7 offset:17344                           // 00000001822C: D86C43C0 47000007
	ds_read_b32 v72, v7 offset:17408                           // 000000018234: D86C4400 48000007
	ds_read_b32 v73, v7 offset:17472                           // 00000001823C: D86C4440 49000007
	ds_read_b32 v74, v7 offset:17536                           // 000000018244: D86C4480 4A000007
	ds_read_b32 v75, v7 offset:17600                           // 00000001824C: D86C44C0 4B000007
	ds_read_b32 v76, v7 offset:17664                           // 000000018254: D86C4500 4C000007
	ds_read_b32 v77, v7 offset:17728                           // 00000001825C: D86C4540 4D000007
	ds_read_b32 v78, v7 offset:17792                           // 000000018264: D86C4580 4E000007
	ds_read_b32 v79, v7 offset:17856                           // 00000001826C: D86C45C0 4F000007
	buffer_load_dwordx4 a[28:31], v25, s[16:19], 0 offen offset:1024// 000000018274: E05C1400 80841C19
	v_cvt_f32_i32_e32 v176, v176                               // 00000001827C: 7F600BB0
	v_cvt_f32_i32_e32 v177, v177                               // 000000018280: 7F620BB1
	v_cvt_f32_i32_e32 v178, v178                               // 000000018284: 7F640BB2
	v_cvt_f32_i32_e32 v179, v179                               // 000000018288: 7F660BB3
	v_cvt_f32_i32_e32 v180, v180                               // 00000001828C: 7F680BB4
	v_cvt_f32_i32_e32 v181, v181                               // 000000018290: 7F6A0BB5
	v_cvt_f32_i32_e32 v182, v182                               // 000000018294: 7F6C0BB6
	v_cvt_f32_i32_e32 v183, v183                               // 000000018298: 7F6E0BB7
	v_mul_f32_e32 v176, v44, v176                              // 00000001829C: 0B61612C
	v_mul_f32_e32 v177, v44, v177                              // 0000000182A0: 0B63632C
	v_mul_f32_e32 v178, v44, v178                              // 0000000182A4: 0B65652C
	v_mul_f32_e32 v179, v44, v179                              // 0000000182A8: 0B67672C
	v_mul_f32_e32 v180, v44, v180                              // 0000000182AC: 0B69692C
	v_mul_f32_e32 v181, v44, v181                              // 0000000182B0: 0B6B6B2C
	v_mul_f32_e32 v182, v44, v182                              // 0000000182B4: 0B6D6D2C
	v_mul_f32_e32 v183, v44, v183                              // 0000000182B8: 0B6F6F2C
	s_waitcnt lgkmcnt(0)                                       // 0000000182BC: BF8CC07F
	v_max3_f32 v48, v64, v65, v48                              // 0000000182C0: D1D30030 04C28340
	v_max3_f32 v48, v66, v67, v48                              // 0000000182C8: D1D30030 04C28742
	v_max3_f32 v48, v68, v69, v48                              // 0000000182D0: D1D30030 04C28B44
	v_max3_f32 v48, v70, v71, v48                              // 0000000182D8: D1D30030 04C28F46
	v_max3_f32 v48, v72, v73, v48                              // 0000000182E0: D1D30030 04C29348
	v_max3_f32 v48, v74, v75, v48                              // 0000000182E8: D1D30030 04C2974A
	v_max3_f32 v48, v76, v77, v48                              // 0000000182F0: D1D30030 04C29B4C
	v_max3_f32 v48, v78, v79, v48                              // 0000000182F8: D1D30030 04C29F4E
	buffer_load_dwordx4 a[64:67], v30, s[20:23], 0 offen       // 000000018300: E05C1000 8085401E
	v_mov_b32_e32 v64, 0xff800000                              // 000000018308: 7E8002FF FF800000
	v_cmp_eq_u32_e64 s[40:41], v64, v11                        // 000000018310: D0CA0028 00021740
	s_nop 1                                                    // 000000018318: BF800001
	v_max_f32_e32 v15, v48, v11                                // 00000001831C: 161E1730
	v_mul_f32_e32 v53, s64, v15                                // 000000018320: 0A6A1E40
	v_fma_f32 v112, v112, s64, -v53                            // 000000018324: D1CB0070 84D48170
	v_fma_f32 v113, v113, s64, -v53                            // 00000001832C: D1CB0071 84D48171
	v_fma_f32 v114, v114, s64, -v53                            // 000000018334: D1CB0072 84D48172
	v_fma_f32 v115, v115, s64, -v53                            // 00000001833C: D1CB0073 84D48173
	v_fma_f32 v116, v116, s64, -v53                            // 000000018344: D1CB0074 84D48174
	v_fma_f32 v117, v117, s64, -v53                            // 00000001834C: D1CB0075 84D48175
	v_fma_f32 v118, v118, s64, -v53                            // 000000018354: D1CB0076 84D48176
	v_fma_f32 v119, v119, s64, -v53                            // 00000001835C: D1CB0077 84D48177
	v_fma_f32 v120, v120, s64, -v53                            // 000000018364: D1CB0078 84D48178
	v_fma_f32 v121, v121, s64, -v53                            // 00000001836C: D1CB0079 84D48179
	v_fma_f32 v122, v122, s64, -v53                            // 000000018374: D1CB007A 84D4817A
	v_fma_f32 v123, v123, s64, -v53                            // 00000001837C: D1CB007B 84D4817B
	v_fma_f32 v124, v124, s64, -v53                            // 000000018384: D1CB007C 84D4817C
	v_fma_f32 v125, v125, s64, -v53                            // 00000001838C: D1CB007D 84D4817D
	v_fma_f32 v126, v126, s64, -v53                            // 000000018394: D1CB007E 84D4817E
	v_fma_f32 v127, v127, s64, -v53                            // 00000001839C: D1CB007F 84D4817F
	buffer_load_dwordx4 a[68:71], v31, s[20:23], 0 offen       // 0000000183A4: E05C1000 8085441F
	v_exp_f32_e32 v112, v112                                   // 0000000183AC: 7EE04170
	v_exp_f32_e32 v113, v113                                   // 0000000183B0: 7EE24171
	v_exp_f32_e32 v114, v114                                   // 0000000183B4: 7EE44172
	v_exp_f32_e32 v115, v115                                   // 0000000183B8: 7EE64173
	v_exp_f32_e32 v116, v116                                   // 0000000183BC: 7EE84174
	v_exp_f32_e32 v117, v117                                   // 0000000183C0: 7EEA4175
	v_exp_f32_e32 v118, v118                                   // 0000000183C4: 7EEC4176
	v_exp_f32_e32 v119, v119                                   // 0000000183C8: 7EEE4177
	v_exp_f32_e32 v120, v120                                   // 0000000183CC: 7EF04178
	v_exp_f32_e32 v121, v121                                   // 0000000183D0: 7EF24179
	v_exp_f32_e32 v122, v122                                   // 0000000183D4: 7EF4417A
	v_exp_f32_e32 v123, v123                                   // 0000000183D8: 7EF6417B
	v_exp_f32_e32 v124, v124                                   // 0000000183DC: 7EF8417C
	v_exp_f32_e32 v125, v125                                   // 0000000183E0: 7EFA417D
	v_exp_f32_e32 v126, v126                                   // 0000000183E4: 7EFC417E
	v_exp_f32_e32 v127, v127                                   // 0000000183E8: 7EFE417F
	buffer_load_dwordx4 a[72:75], v32, s[20:23], 0 offen       // 0000000183EC: E05C1000 80854820
	v_mul_f32_dpp v240, v252, v112 quad_perm:[0,0,0,0] row_mask:0xf bank_mask:0xf// 0000000183F4: 0BE0E0FA FF0000FC
	v_mul_f32_dpp v241, v252, v113 quad_perm:[1,1,1,1] row_mask:0xf bank_mask:0xf// 0000000183FC: 0BE2E2FA FF0055FC
	v_mul_f32_dpp v242, v252, v114 quad_perm:[2,2,2,2] row_mask:0xf bank_mask:0xf// 000000018404: 0BE4E4FA FF00AAFC
	v_mul_f32_dpp v243, v252, v115 quad_perm:[3,3,3,3] row_mask:0xf bank_mask:0xf// 00000001840C: 0BE6E6FA FF00FFFC
	v_mul_f32_dpp v244, v253, v116 quad_perm:[0,0,0,0] row_mask:0xf bank_mask:0xf// 000000018414: 0BE8E8FA FF0000FD
	v_mul_f32_dpp v245, v253, v117 quad_perm:[1,1,1,1] row_mask:0xf bank_mask:0xf// 00000001841C: 0BEAEAFA FF0055FD
	v_mul_f32_dpp v246, v253, v118 quad_perm:[2,2,2,2] row_mask:0xf bank_mask:0xf// 000000018424: 0BECECFA FF00AAFD
	v_mul_f32_dpp v247, v253, v119 quad_perm:[3,3,3,3] row_mask:0xf bank_mask:0xf// 00000001842C: 0BEEEEFA FF00FFFD
	v_mul_f32_dpp v248, v254, v120 quad_perm:[0,0,0,0] row_mask:0xf bank_mask:0xf// 000000018434: 0BF0F0FA FF0000FE
	v_mul_f32_dpp v249, v254, v121 quad_perm:[1,1,1,1] row_mask:0xf bank_mask:0xf// 00000001843C: 0BF2F2FA FF0055FE
	v_mul_f32_dpp v250, v254, v122 quad_perm:[2,2,2,2] row_mask:0xf bank_mask:0xf// 000000018444: 0BF4F4FA FF00AAFE
	v_mul_f32_dpp v251, v254, v123 quad_perm:[3,3,3,3] row_mask:0xf bank_mask:0xf// 00000001844C: 0BF6F6FA FF00FFFE
	v_mul_f32_dpp v252, v255, v124 quad_perm:[0,0,0,0] row_mask:0xf bank_mask:0xf// 000000018454: 0BF8F8FA FF0000FF
	v_mul_f32_dpp v253, v255, v125 quad_perm:[1,1,1,1] row_mask:0xf bank_mask:0xf// 00000001845C: 0BFAFAFA FF0055FF
	v_mul_f32_dpp v254, v255, v126 quad_perm:[2,2,2,2] row_mask:0xf bank_mask:0xf// 000000018464: 0BFCFCFA FF00AAFF
	v_mul_f32_dpp v255, v255, v127 quad_perm:[3,3,3,3] row_mask:0xf bank_mask:0xf// 00000001846C: 0BFEFEFA FF00FFFF
	v_mov_b32_e32 v48, 0x358637bd                              // 000000018474: 7E6002FF 358637BD
	v_max3_f32 v48, |v240|, |v241|, v48                        // 00000001847C: D1D30330 04C3E3F0
	v_max3_f32 v48, |v242|, |v243|, v48                        // 000000018484: D1D30330 04C3E7F2
	v_max3_f32 v48, |v244|, |v245|, v48                        // 00000001848C: D1D30330 04C3EBF4
	v_max3_f32 v48, |v246|, |v247|, v48                        // 000000018494: D1D30330 04C3EFF6
	v_max3_f32 v48, |v248|, |v249|, v48                        // 00000001849C: D1D30330 04C3F3F8
	v_max3_f32 v48, |v250|, |v251|, v48                        // 0000000184A4: D1D30330 04C3F7FA
	v_max3_f32 v48, |v252|, |v253|, v48                        // 0000000184AC: D1D30330 04C3FBFC
	v_max3_f32 v48, |v254|, |v255|, v48                        // 0000000184B4: D1D30330 04C3FFFE
	buffer_load_dwordx4 a[76:79], v33, s[20:23], 0 offen       // 0000000184BC: E05C1000 80854C21
	ds_write_b32 v8, v48 offset:20992                          // 0000000184C4: D81A5200 00003008
	v_sub_f32_e32 v49, v11, v15                                // 0000000184CC: 04621F0B
	v_cndmask_b32_e64 v49, v49, 0, s[40:41]                    // 0000000184D0: D1000031 00A10131
	v_mov_b32_e32 v11, v15                                     // 0000000184D8: 7E16030F
	v_mul_f32_e32 v49, s64, v49                                // 0000000184DC: 0A626240
	v_exp_f32_e32 v49, v49                                     // 0000000184E0: 7E624131
	s_waitcnt lgkmcnt(0)                                       // 0000000184E4: BF8CC07F
	s_barrier                                                  // 0000000184E8: BF8A0000
	ds_read_b32 v64, v7 offset:20992                           // 0000000184EC: D86C5200 40000007
	ds_read_b32 v65, v7 offset:21056                           // 0000000184F4: D86C5240 41000007
	ds_read_b32 v66, v7 offset:21120                           // 0000000184FC: D86C5280 42000007
	ds_read_b32 v67, v7 offset:21184                           // 000000018504: D86C52C0 43000007
	ds_read_b32 v68, v7 offset:21248                           // 00000001850C: D86C5300 44000007
	ds_read_b32 v69, v7 offset:21312                           // 000000018514: D86C5340 45000007
	ds_read_b32 v70, v7 offset:21376                           // 00000001851C: D86C5380 46000007
	ds_read_b32 v71, v7 offset:21440                           // 000000018524: D86C53C0 47000007
	ds_read_b32 v72, v7 offset:21504                           // 00000001852C: D86C5400 48000007
	ds_read_b32 v73, v7 offset:21568                           // 000000018534: D86C5440 49000007
	ds_read_b32 v74, v7 offset:21632                           // 00000001853C: D86C5480 4A000007
	ds_read_b32 v75, v7 offset:21696                           // 000000018544: D86C54C0 4B000007
	ds_read_b32 v76, v7 offset:21760                           // 00000001854C: D86C5500 4C000007
	ds_read_b32 v77, v7 offset:21824                           // 000000018554: D86C5540 4D000007
	ds_read_b32 v78, v7 offset:21888                           // 00000001855C: D86C5580 4E000007
	ds_read_b32 v79, v7 offset:21952                           // 000000018564: D86C55C0 4F000007
	v_mul_f32_e32 v38, v49, v38                                // 00000001856C: 0A4C4D31
	v_mov_b32_e32 v15, v112                                    // 000000018570: 7E1E0370
	v_add_f32_e32 v15, v113, v15                               // 000000018574: 021E1F71
	v_add_f32_e32 v15, v114, v15                               // 000000018578: 021E1F72
	v_add_f32_e32 v15, v115, v15                               // 00000001857C: 021E1F73
	v_add_f32_e32 v15, v116, v15                               // 000000018580: 021E1F74
	v_add_f32_e32 v15, v117, v15                               // 000000018584: 021E1F75
	v_add_f32_e32 v15, v118, v15                               // 000000018588: 021E1F76
	v_add_f32_e32 v15, v119, v15                               // 00000001858C: 021E1F77
	v_add_f32_e32 v15, v120, v15                               // 000000018590: 021E1F78
	v_add_f32_e32 v15, v121, v15                               // 000000018594: 021E1F79
	v_add_f32_e32 v15, v122, v15                               // 000000018598: 021E1F7A
	v_add_f32_e32 v15, v123, v15                               // 00000001859C: 021E1F7B
	v_add_f32_e32 v15, v124, v15                               // 0000000185A0: 021E1F7C
	v_add_f32_e32 v15, v125, v15                               // 0000000185A4: 021E1F7D
	v_add_f32_e32 v15, v126, v15                               // 0000000185A8: 021E1F7E
	v_add_f32_e32 v15, v127, v15                               // 0000000185AC: 021E1F7F
	v_add_f32_e32 v38, v15, v38                                // 0000000185B0: 024C4D0F
	s_waitcnt lgkmcnt(0)                                       // 0000000185B4: BF8CC07F
	v_max3_f32 v48, |v64|, |v65|, v48                          // 0000000185B8: D1D30330 04C28340
	v_max3_f32 v48, |v66|, |v67|, v48                          // 0000000185C0: D1D30330 04C28742
	v_max3_f32 v48, |v68|, |v69|, v48                          // 0000000185C8: D1D30330 04C28B44
	v_max3_f32 v48, |v70|, |v71|, v48                          // 0000000185D0: D1D30330 04C28F46
	v_max3_f32 v48, |v72|, |v73|, v48                          // 0000000185D8: D1D30330 04C29348
	v_max3_f32 v48, |v74|, |v75|, v48                          // 0000000185E0: D1D30330 04C2974A
	v_max3_f32 v48, |v76|, |v77|, v48                          // 0000000185E8: D1D30330 04C29B4C
	v_max3_f32 v48, |v78|, |v79|, v48                          // 0000000185F0: D1D30330 04C29F4E
	s_nop 2                                                    // 0000000185F8: BF800002
	v_rcp_f32_e32 v48, v48                                     // 0000000185FC: 7E604530
	s_nop 1                                                    // 000000018600: BF800001
	v_mul_f32_e32 v48, 0x42fe0000, v48                         // 000000018604: 0A6060FF 42FE0000
	v_mul_f32_e32 v112, v48, v240                              // 00000001860C: 0AE1E130
	v_mul_f32_e32 v113, v48, v241                              // 000000018610: 0AE3E330
	v_mul_f32_e32 v114, v48, v242                              // 000000018614: 0AE5E530
	v_mul_f32_e32 v115, v48, v243                              // 000000018618: 0AE7E730
	v_mul_f32_e32 v116, v48, v244                              // 00000001861C: 0AE9E930
	v_mul_f32_e32 v117, v48, v245                              // 000000018620: 0AEBEB30
	v_mul_f32_e32 v118, v48, v246                              // 000000018624: 0AEDED30
	v_mul_f32_e32 v119, v48, v247                              // 000000018628: 0AEFEF30
	v_mul_f32_e32 v120, v48, v248                              // 00000001862C: 0AF1F130
	v_mul_f32_e32 v121, v48, v249                              // 000000018630: 0AF3F330
	v_mul_f32_e32 v122, v48, v250                              // 000000018634: 0AF5F530
	v_mul_f32_e32 v123, v48, v251                              // 000000018638: 0AF7F730
	v_mul_f32_e32 v124, v48, v252                              // 00000001863C: 0AF9F930
	v_mul_f32_e32 v125, v48, v253                              // 000000018640: 0AFBFB30
	v_mul_f32_e32 v126, v48, v254                              // 000000018644: 0AFDFD30
	v_mul_f32_e32 v127, v48, v255                              // 000000018648: 0AFFFF30
	v_cvt_i32_f32_e32 v112, v112                               // 00000001864C: 7EE01170
	v_cvt_i32_f32_e32 v113, v113                               // 000000018650: 7EE21171
	v_cvt_i32_f32_e32 v114, v114                               // 000000018654: 7EE41172
	v_cvt_i32_f32_e32 v115, v115                               // 000000018658: 7EE61173
	v_cvt_i32_f32_e32 v116, v116                               // 00000001865C: 7EE81174
	v_cvt_i32_f32_e32 v117, v117                               // 000000018660: 7EEA1175
	v_cvt_i32_f32_e32 v118, v118                               // 000000018664: 7EEC1176
	v_cvt_i32_f32_e32 v119, v119                               // 000000018668: 7EEE1177
	v_cvt_i32_f32_e32 v120, v120                               // 00000001866C: 7EF01178
	v_cvt_i32_f32_e32 v121, v121                               // 000000018670: 7EF21179
	v_cvt_i32_f32_e32 v122, v122                               // 000000018674: 7EF4117A
	v_cvt_i32_f32_e32 v123, v123                               // 000000018678: 7EF6117B
	v_cvt_i32_f32_e32 v124, v124                               // 00000001867C: 7EF8117C
	v_cvt_i32_f32_e32 v125, v125                               // 000000018680: 7EFA117D
	v_cvt_i32_f32_e32 v126, v126                               // 000000018684: 7EFC117E
	v_cvt_i32_f32_e32 v127, v127                               // 000000018688: 7EFE117F
	v_perm_b32 v112, v113, v112, s53                           // 00000001868C: D1ED0070 00D6E171
	v_perm_b32 v112, v114, v112, s54                           // 000000018694: D1ED0070 00DAE172
	v_perm_b32 v112, v115, v112, s55                           // 00000001869C: D1ED0070 00DEE173
	v_perm_b32 v113, v117, v116, s53                           // 0000000186A4: D1ED0071 00D6E975
	v_perm_b32 v113, v118, v113, s54                           // 0000000186AC: D1ED0071 00DAE376
	v_perm_b32 v113, v119, v113, s55                           // 0000000186B4: D1ED0071 00DEE377
	v_perm_b32 v114, v121, v120, s53                           // 0000000186BC: D1ED0072 00D6F179
	v_perm_b32 v114, v122, v114, s54                           // 0000000186C4: D1ED0072 00DAE57A
	v_perm_b32 v114, v123, v114, s55                           // 0000000186CC: D1ED0072 00DEE57B
	v_perm_b32 v115, v125, v124, s53                           // 0000000186D4: D1ED0073 00D6F97D
	v_perm_b32 v115, v126, v115, s54                           // 0000000186DC: D1ED0073 00DAE77E
	v_perm_b32 v115, v127, v115, s55                           // 0000000186E4: D1ED0073 00DEE77F
	ds_write_b32 v10, v112 offset:25088                        // 0000000186EC: D81A6200 0000700A
	ds_write_b32 v10, v113 offset:26112                        // 0000000186F4: D81A6600 0000710A
	ds_write_b32 v10, v114 offset:27136                        // 0000000186FC: D81A6A00 0000720A
	ds_write_b32 v10, v115 offset:28160                        // 000000018704: D81A6E00 0000730A
	v_add_f32_e32 v208, v208, v176                             // 00000001870C: 03A161D0
	v_add_f32_e32 v209, v209, v177                             // 000000018710: 03A363D1
	v_add_f32_e32 v210, v210, v178                             // 000000018714: 03A565D2
	v_add_f32_e32 v211, v211, v179                             // 000000018718: 03A767D3
	v_add_f32_e32 v212, v212, v180                             // 00000001871C: 03A969D4
	v_add_f32_e32 v213, v213, v181                             // 000000018720: 03AB6BD5
	v_add_f32_e32 v214, v214, v182                             // 000000018724: 03AD6DD6
	v_add_f32_e32 v215, v215, v183                             // 000000018728: 03AF6FD7
	v_rcp_f32_e32 v44, v48                                     // 00000001872C: 7E584530
	s_waitcnt lgkmcnt(0)                                       // 000000018730: BF8CC07F
	s_barrier                                                  // 000000018734: BF8A0000
	ds_read_b64 v[112:113], v9 offset:25088                    // 000000018738: D8EC6200 70000009
	ds_read_b64 v[114:115], v9 offset:25216                    // 000000018740: D8EC6280 72000009
	ds_read_b64 v[116:117], v9 offset:26112                    // 000000018748: D8EC6600 74000009
	ds_read_b64 v[118:119], v9 offset:26240                    // 000000018750: D8EC6680 76000009
	ds_read_b64 v[120:121], v9 offset:27136                    // 000000018758: D8EC6A00 78000009
	ds_read_b64 v[122:123], v9 offset:27264                    // 000000018760: D8EC6A80 7A000009
	ds_read_b64 v[124:125], v9 offset:28160                    // 000000018768: D8EC6E00 7C000009
	ds_read_b64 v[126:127], v9 offset:28288                    // 000000018770: D8EC6E80 7E000009
	v_mov_b32_dpp v64, v43 row_shr:4 row_mask:0xf bank_mask:0xf// 000000018778: 7E8002FA FF01142B
	v_mov_b32_dpp v65, v43 row_shl:4 row_mask:0xf bank_mask:0xf// 000000018780: 7E8202FA FF01042B
	v_cndmask_b32_e64 v248, v43, v64, s[44:45]                 // 000000018788: D10000F8 00B2812B
	v_cndmask_b32_e64 v249, v65, v43, s[44:45]                 // 000000018790: D10000F9 00B25741
	v_mov_b32_dpp v64, v248 row_shr:8 row_mask:0xf bank_mask:0xf// 000000018798: 7E8002FA FF0118F8
	v_mov_b32_dpp v65, v248 row_shl:8 row_mask:0xf bank_mask:0xf// 0000000187A0: 7E8202FA FF0108F8
	v_mov_b32_dpp v66, v249 row_shr:8 row_mask:0xf bank_mask:0xf// 0000000187A8: 7E8402FA FF0118F9
	v_mov_b32_dpp v67, v249 row_shl:8 row_mask:0xf bank_mask:0xf// 0000000187B0: 7E8602FA FF0108F9
	v_mov_b32_e32 v68, v248                                    // 0000000187B8: 7E8803F8
	v_mov_b32_e32 v69, v249                                    // 0000000187BC: 7E8A03F9
	v_cndmask_b32_e64 v248, v68, v64, s[42:43]                 // 0000000187C0: D10000F8 00AA8144
	v_cndmask_b32_e64 v250, v68, v65, s[78:79]                 // 0000000187C8: D10000FA 013A8344
	v_cndmask_b32_e64 v249, v69, v66, s[42:43]                 // 0000000187D0: D10000F9 00AA8545
	v_cndmask_b32_e64 v251, v69, v67, s[78:79]                 // 0000000187D8: D10000FB 013A8745
	v_mov_b32_dpp v64, v58 row_shr:4 row_mask:0xf bank_mask:0xf// 0000000187E0: 7E8002FA FF01143A
	v_mov_b32_dpp v65, v58 row_shl:4 row_mask:0xf bank_mask:0xf// 0000000187E8: 7E8202FA FF01043A
	v_cndmask_b32_e64 v252, v58, v64, s[44:45]                 // 0000000187F0: D10000FC 00B2813A
	v_cndmask_b32_e64 v253, v65, v58, s[44:45]                 // 0000000187F8: D10000FD 00B27541
	v_mov_b32_dpp v64, v252 row_shr:8 row_mask:0xf bank_mask:0xf// 000000018800: 7E8002FA FF0118FC
	v_mov_b32_dpp v65, v252 row_shl:8 row_mask:0xf bank_mask:0xf// 000000018808: 7E8202FA FF0108FC
	v_mov_b32_dpp v66, v253 row_shr:8 row_mask:0xf bank_mask:0xf// 000000018810: 7E8402FA FF0118FD
	v_mov_b32_dpp v67, v253 row_shl:8 row_mask:0xf bank_mask:0xf// 000000018818: 7E8602FA FF0108FD
	v_mov_b32_e32 v68, v252                                    // 000000018820: 7E8803FC
	v_mov_b32_e32 v69, v253                                    // 000000018824: 7E8A03FD
	v_cndmask_b32_e64 v252, v68, v64, s[42:43]                 // 000000018828: D10000FC 00AA8144
	v_cndmask_b32_e64 v254, v68, v65, s[78:79]                 // 000000018830: D10000FE 013A8344
	v_cndmask_b32_e64 v253, v69, v66, s[42:43]                 // 000000018838: D10000FD 00AA8545
	v_cndmask_b32_e64 v255, v69, v67, s[78:79]                 // 000000018840: D10000FF 013A8745
	v_cvt_f32_i32_e32 v128, v128                               // 000000018848: 7F000B80
	v_cvt_f32_i32_e32 v129, v129                               // 00000001884C: 7F020B81
	v_cvt_f32_i32_e32 v130, v130                               // 000000018850: 7F040B82
	v_cvt_f32_i32_e32 v131, v131                               // 000000018854: 7F060B83
	v_cvt_f32_i32_e32 v132, v132                               // 000000018858: 7F080B84
	v_cvt_f32_i32_e32 v133, v133                               // 00000001885C: 7F0A0B85
	v_cvt_f32_i32_e32 v134, v134                               // 000000018860: 7F0C0B86
	v_cvt_f32_i32_e32 v135, v135                               // 000000018864: 7F0E0B87
	v_cvt_f32_i32_e32 v136, v136                               // 000000018868: 7F100B88
	v_cvt_f32_i32_e32 v137, v137                               // 00000001886C: 7F120B89
	v_cvt_f32_i32_e32 v138, v138                               // 000000018870: 7F140B8A
	v_cvt_f32_i32_e32 v139, v139                               // 000000018874: 7F160B8B
	v_cvt_f32_i32_e32 v140, v140                               // 000000018878: 7F180B8C
	v_cvt_f32_i32_e32 v141, v141                               // 00000001887C: 7F1A0B8D
	v_cvt_f32_i32_e32 v142, v142                               // 000000018880: 7F1C0B8E
	v_cvt_f32_i32_e32 v143, v143                               // 000000018884: 7F1E0B8F
	v_mul_f32_e32 v128, v19, v128                              // 000000018888: 0B010113
	v_mul_f32_e32 v129, v19, v129                              // 00000001888C: 0B030313
	v_mul_f32_e32 v130, v19, v130                              // 000000018890: 0B050513
	v_mul_f32_e32 v131, v19, v131                              // 000000018894: 0B070713
	v_mul_f32_e32 v132, v19, v132                              // 000000018898: 0B090913
	v_mul_f32_e32 v133, v19, v133                              // 00000001889C: 0B0B0B13
	v_mul_f32_e32 v134, v19, v134                              // 0000000188A0: 0B0D0D13
	v_mul_f32_e32 v135, v19, v135                              // 0000000188A4: 0B0F0F13
	v_mul_f32_e32 v136, v19, v136                              // 0000000188A8: 0B111113
	v_mul_f32_e32 v137, v19, v137                              // 0000000188AC: 0B131313
	v_mul_f32_e32 v138, v19, v138                              // 0000000188B0: 0B151513
	v_mul_f32_e32 v139, v19, v139                              // 0000000188B4: 0B171713
	v_mul_f32_e32 v140, v19, v140                              // 0000000188B8: 0B191913
	v_mul_f32_e32 v141, v19, v141                              // 0000000188BC: 0B1B1B13
	v_mul_f32_e32 v142, v19, v142                              // 0000000188C0: 0B1D1D13
	v_mul_f32_e32 v143, v19, v143                              // 0000000188C4: 0B1F1F13
	v_mul_f32_dpp v128, v248, v128 quad_perm:[0,0,0,0] row_mask:0xf bank_mask:0xf// 0000000188C8: 0B0100FA FF0000F8
	v_mul_f32_dpp v129, v248, v129 quad_perm:[1,1,1,1] row_mask:0xf bank_mask:0xf// 0000000188D0: 0B0302FA FF0055F8
	v_mul_f32_dpp v130, v248, v130 quad_perm:[2,2,2,2] row_mask:0xf bank_mask:0xf// 0000000188D8: 0B0504FA FF00AAF8
	v_mul_f32_dpp v131, v248, v131 quad_perm:[3,3,3,3] row_mask:0xf bank_mask:0xf// 0000000188E0: 0B0706FA FF00FFF8
	v_mul_f32_dpp v132, v249, v132 quad_perm:[0,0,0,0] row_mask:0xf bank_mask:0xf// 0000000188E8: 0B0908FA FF0000F9
	v_mul_f32_dpp v133, v249, v133 quad_perm:[1,1,1,1] row_mask:0xf bank_mask:0xf// 0000000188F0: 0B0B0AFA FF0055F9
	v_mul_f32_dpp v134, v249, v134 quad_perm:[2,2,2,2] row_mask:0xf bank_mask:0xf// 0000000188F8: 0B0D0CFA FF00AAF9
	v_mul_f32_dpp v135, v249, v135 quad_perm:[3,3,3,3] row_mask:0xf bank_mask:0xf// 000000018900: 0B0F0EFA FF00FFF9
	v_mul_f32_dpp v136, v250, v136 quad_perm:[0,0,0,0] row_mask:0xf bank_mask:0xf// 000000018908: 0B1110FA FF0000FA
	v_mul_f32_dpp v137, v250, v137 quad_perm:[1,1,1,1] row_mask:0xf bank_mask:0xf// 000000018910: 0B1312FA FF0055FA
	v_mul_f32_dpp v138, v250, v138 quad_perm:[2,2,2,2] row_mask:0xf bank_mask:0xf// 000000018918: 0B1514FA FF00AAFA
	v_mul_f32_dpp v139, v250, v139 quad_perm:[3,3,3,3] row_mask:0xf bank_mask:0xf// 000000018920: 0B1716FA FF00FFFA
	v_mul_f32_dpp v140, v251, v140 quad_perm:[0,0,0,0] row_mask:0xf bank_mask:0xf// 000000018928: 0B1918FA FF0000FB
	v_mul_f32_dpp v141, v251, v141 quad_perm:[1,1,1,1] row_mask:0xf bank_mask:0xf// 000000018930: 0B1B1AFA FF0055FB
	v_mul_f32_dpp v142, v251, v142 quad_perm:[2,2,2,2] row_mask:0xf bank_mask:0xf// 000000018938: 0B1D1CFA FF00AAFB
	v_mul_f32_dpp v143, v251, v143 quad_perm:[3,3,3,3] row_mask:0xf bank_mask:0xf// 000000018940: 0B1F1EFA FF00FFFB
	s_cmp_le_i32 s90, s89                                      // 000000018948: BF05595A
	s_cbranch_scc1 label_5A45                                  // 00000001894C: BF850071
	v_mov_b32_e32 v66, 0xff800000                              // 000000018950: 7E8402FF FF800000
	s_mov_b32 s60, s90                                         // 000000018958: BEBC005A
	s_add_u32 s61, s89, 0xff                                   // 00000001895C: 803DFF59 000000FF
	v_mov_b32_e32 v64, s61                                     // 000000018964: 7E80023D
	v_lshrrev_b32_e32 v240, 4, v0                              // 000000018968: 21E00084
	v_mul_i32_i24_e32 v240, 4, v240                            // 00000001896C: 0DE1E084
	v_add_u32_e32 v240, s60, v240                              // 000000018970: 69E1E03C
	s_mov_b32 s61, 1                                           // 000000018974: BEBD0081
	s_mul_i32 s60, 16, s7                                      // 000000018978: 923C0790
	v_sub_u32_e64 v240, v240, s61                              // 00000001897C: D13500F0 00007BF0
	v_add_u32_e32 v240, s60, v240                              // 000000018984: 69E1E03C
	v_add_u32_e32 v241, 1, v240                                // 000000018988: 69E3E081
	v_add_u32_e32 v242, 2, v240                                // 00000001898C: 69E5E082
	v_add_u32_e32 v243, 3, v240                                // 000000018990: 69E7E083
	v_cmp_le_u32_e64 s[40:41], v240, v64                       // 000000018994: D0CB0028 000281F0
	v_add_u32_e32 v240, 64, v240                               // 00000001899C: 69E1E0C0
	s_nop 0                                                    // 0000000189A0: BF800000
	v_cndmask_b32_e64 v128, v66, v128, s[40:41]                // 0000000189A4: D1000080 00A30142
	v_cmp_le_u32_e64 s[40:41], v241, v64                       // 0000000189AC: D0CB0028 000281F1
	v_add_u32_e32 v241, 64, v241                               // 0000000189B4: 69E3E2C0
	s_nop 0                                                    // 0000000189B8: BF800000
	v_cndmask_b32_e64 v129, v66, v129, s[40:41]                // 0000000189BC: D1000081 00A30342
	v_cmp_le_u32_e64 s[40:41], v242, v64                       // 0000000189C4: D0CB0028 000281F2
	v_add_u32_e32 v242, 64, v242                               // 0000000189CC: 69E5E4C0
	s_nop 0                                                    // 0000000189D0: BF800000
	v_cndmask_b32_e64 v130, v66, v130, s[40:41]                // 0000000189D4: D1000082 00A30542
	v_cmp_le_u32_e64 s[40:41], v243, v64                       // 0000000189DC: D0CB0028 000281F3
	v_add_u32_e32 v243, 64, v243                               // 0000000189E4: 69E7E6C0
	s_nop 0                                                    // 0000000189E8: BF800000
	v_cndmask_b32_e64 v131, v66, v131, s[40:41]                // 0000000189EC: D1000083 00A30742
	v_cmp_le_u32_e64 s[40:41], v240, v64                       // 0000000189F4: D0CB0028 000281F0
	v_add_u32_e32 v240, 64, v240                               // 0000000189FC: 69E1E0C0
	s_nop 0                                                    // 000000018A00: BF800000
	v_cndmask_b32_e64 v132, v66, v132, s[40:41]                // 000000018A04: D1000084 00A30942
	v_cmp_le_u32_e64 s[40:41], v241, v64                       // 000000018A0C: D0CB0028 000281F1
	v_add_u32_e32 v241, 64, v241                               // 000000018A14: 69E3E2C0
	s_nop 0                                                    // 000000018A18: BF800000
	v_cndmask_b32_e64 v133, v66, v133, s[40:41]                // 000000018A1C: D1000085 00A30B42
	v_cmp_le_u32_e64 s[40:41], v242, v64                       // 000000018A24: D0CB0028 000281F2
	v_add_u32_e32 v242, 64, v242                               // 000000018A2C: 69E5E4C0
	s_nop 0                                                    // 000000018A30: BF800000
	v_cndmask_b32_e64 v134, v66, v134, s[40:41]                // 000000018A34: D1000086 00A30D42
	v_cmp_le_u32_e64 s[40:41], v243, v64                       // 000000018A3C: D0CB0028 000281F3
	v_add_u32_e32 v243, 64, v243                               // 000000018A44: 69E7E6C0
	s_nop 0                                                    // 000000018A48: BF800000
	v_cndmask_b32_e64 v135, v66, v135, s[40:41]                // 000000018A4C: D1000087 00A30F42
	v_cmp_le_u32_e64 s[40:41], v240, v64                       // 000000018A54: D0CB0028 000281F0
	v_add_u32_e32 v240, 64, v240                               // 000000018A5C: 69E1E0C0
	s_nop 0                                                    // 000000018A60: BF800000
	v_cndmask_b32_e64 v136, v66, v136, s[40:41]                // 000000018A64: D1000088 00A31142
	v_cmp_le_u32_e64 s[40:41], v241, v64                       // 000000018A6C: D0CB0028 000281F1
	v_add_u32_e32 v241, 64, v241                               // 000000018A74: 69E3E2C0
	s_nop 0                                                    // 000000018A78: BF800000
	v_cndmask_b32_e64 v137, v66, v137, s[40:41]                // 000000018A7C: D1000089 00A31342
	v_cmp_le_u32_e64 s[40:41], v242, v64                       // 000000018A84: D0CB0028 000281F2
	v_add_u32_e32 v242, 64, v242                               // 000000018A8C: 69E5E4C0
	s_nop 0                                                    // 000000018A90: BF800000
	v_cndmask_b32_e64 v138, v66, v138, s[40:41]                // 000000018A94: D100008A 00A31542
	v_cmp_le_u32_e64 s[40:41], v243, v64                       // 000000018A9C: D0CB0028 000281F3
	v_add_u32_e32 v243, 64, v243                               // 000000018AA4: 69E7E6C0
	s_nop 0                                                    // 000000018AA8: BF800000
	v_cndmask_b32_e64 v139, v66, v139, s[40:41]                // 000000018AAC: D100008B 00A31742
	v_cmp_le_u32_e64 s[40:41], v240, v64                       // 000000018AB4: D0CB0028 000281F0
	v_add_u32_e32 v240, 64, v240                               // 000000018ABC: 69E1E0C0
	s_nop 0                                                    // 000000018AC0: BF800000
	v_cndmask_b32_e64 v140, v66, v140, s[40:41]                // 000000018AC4: D100008C 00A31942
	v_cmp_le_u32_e64 s[40:41], v241, v64                       // 000000018ACC: D0CB0028 000281F1
	v_add_u32_e32 v241, 64, v241                               // 000000018AD4: 69E3E2C0
	s_nop 0                                                    // 000000018AD8: BF800000
	v_cndmask_b32_e64 v141, v66, v141, s[40:41]                // 000000018ADC: D100008D 00A31B42
	v_cmp_le_u32_e64 s[40:41], v242, v64                       // 000000018AE4: D0CB0028 000281F2
	v_add_u32_e32 v242, 64, v242                               // 000000018AEC: 69E5E4C0
	s_nop 0                                                    // 000000018AF0: BF800000
	v_cndmask_b32_e64 v142, v66, v142, s[40:41]                // 000000018AF4: D100008E 00A31D42
	v_cmp_le_u32_e64 s[40:41], v243, v64                       // 000000018AFC: D0CB0028 000281F3
	v_add_u32_e32 v243, 64, v243                               // 000000018B04: 69E7E6C0
	s_nop 0                                                    // 000000018B08: BF800000
	v_cndmask_b32_e64 v143, v66, v143, s[40:41]                // 000000018B0C: D100008F 00A31F42

0000000000018b14 <label_5A45>:
	v_mov_b32_e32 v48, v128                                    // 000000018B14: 7E600380
	v_max3_f32 v48, v128, v129, v48                            // 000000018B18: D1D30030 04C30380
	v_max3_f32 v48, v130, v131, v48                            // 000000018B20: D1D30030 04C30782
	v_max3_f32 v48, v132, v133, v48                            // 000000018B28: D1D30030 04C30B84
	v_max3_f32 v48, v134, v135, v48                            // 000000018B30: D1D30030 04C30F86
	v_max3_f32 v48, v136, v137, v48                            // 000000018B38: D1D30030 04C31388
	v_max3_f32 v48, v138, v139, v48                            // 000000018B40: D1D30030 04C3178A
	v_max3_f32 v48, v140, v141, v48                            // 000000018B48: D1D30030 04C31B8C
	v_max3_f32 v48, v142, v143, v48                            // 000000018B50: D1D30030 04C31F8E
	ds_write_b32 v8, v48 offset:16896                          // 000000018B58: D81A4200 00003008
	v_mul_f32_e32 v216, v50, v216                              // 000000018B60: 0BB1B132
	v_mul_f32_e32 v217, v50, v217                              // 000000018B64: 0BB3B332
	v_mul_f32_e32 v218, v50, v218                              // 000000018B68: 0BB5B532
	v_mul_f32_e32 v219, v50, v219                              // 000000018B6C: 0BB7B732
	v_mul_f32_e32 v220, v50, v220                              // 000000018B70: 0BB9B932
	v_mul_f32_e32 v221, v50, v221                              // 000000018B74: 0BBBBB32
	v_mul_f32_e32 v222, v50, v222                              // 000000018B78: 0BBDBD32
	v_mul_f32_e32 v223, v50, v223                              // 000000018B7C: 0BBFBF32
	s_waitcnt lgkmcnt(0)                                       // 000000018B80: BF8CC07F
	s_barrier                                                  // 000000018B84: BF8A0000
	ds_read_b32 v64, v7 offset:16896                           // 000000018B88: D86C4200 40000007
	ds_read_b32 v65, v7 offset:16960                           // 000000018B90: D86C4240 41000007
	ds_read_b32 v66, v7 offset:17024                           // 000000018B98: D86C4280 42000007
	ds_read_b32 v67, v7 offset:17088                           // 000000018BA0: D86C42C0 43000007
	ds_read_b32 v68, v7 offset:17152                           // 000000018BA8: D86C4300 44000007
	ds_read_b32 v69, v7 offset:17216                           // 000000018BB0: D86C4340 45000007
	ds_read_b32 v70, v7 offset:17280                           // 000000018BB8: D86C4380 46000007
	ds_read_b32 v71, v7 offset:17344                           // 000000018BC0: D86C43C0 47000007
	ds_read_b32 v72, v7 offset:17408                           // 000000018BC8: D86C4400 48000007
	ds_read_b32 v73, v7 offset:17472                           // 000000018BD0: D86C4440 49000007
	ds_read_b32 v74, v7 offset:17536                           // 000000018BD8: D86C4480 4A000007
	ds_read_b32 v75, v7 offset:17600                           // 000000018BE0: D86C44C0 4B000007
	ds_read_b32 v76, v7 offset:17664                           // 000000018BE8: D86C4500 4C000007
	ds_read_b32 v77, v7 offset:17728                           // 000000018BF0: D86C4540 4D000007
	ds_read_b32 v78, v7 offset:17792                           // 000000018BF8: D86C4580 4E000007
	ds_read_b32 v79, v7 offset:17856                           // 000000018C00: D86C45C0 4F000007
	v_cvt_f32_i32_e32 v184, v184                               // 000000018C08: 7F700BB8
	v_cvt_f32_i32_e32 v185, v185                               // 000000018C0C: 7F720BB9
	v_cvt_f32_i32_e32 v186, v186                               // 000000018C10: 7F740BBA
	v_cvt_f32_i32_e32 v187, v187                               // 000000018C14: 7F760BBB
	v_cvt_f32_i32_e32 v188, v188                               // 000000018C18: 7F780BBC
	v_cvt_f32_i32_e32 v189, v189                               // 000000018C1C: 7F7A0BBD
	v_cvt_f32_i32_e32 v190, v190                               // 000000018C20: 7F7C0BBE
	v_cvt_f32_i32_e32 v191, v191                               // 000000018C24: 7F7E0BBF
	v_mul_f32_e32 v184, v45, v184                              // 000000018C28: 0B71712D
	v_mul_f32_e32 v185, v45, v185                              // 000000018C2C: 0B73732D
	v_mul_f32_e32 v186, v45, v186                              // 000000018C30: 0B75752D
	v_mul_f32_e32 v187, v45, v187                              // 000000018C34: 0B77772D
	v_mul_f32_e32 v188, v45, v188                              // 000000018C38: 0B79792D
	v_mul_f32_e32 v189, v45, v189                              // 000000018C3C: 0B7B7B2D
	v_mul_f32_e32 v190, v45, v190                              // 000000018C40: 0B7D7D2D
	v_mul_f32_e32 v191, v45, v191                              // 000000018C44: 0B7F7F2D
	s_waitcnt lgkmcnt(0)                                       // 000000018C48: BF8CC07F
	v_max3_f32 v48, v64, v65, v48                              // 000000018C4C: D1D30030 04C28340
	v_max3_f32 v48, v66, v67, v48                              // 000000018C54: D1D30030 04C28742
	v_max3_f32 v48, v68, v69, v48                              // 000000018C5C: D1D30030 04C28B44
	v_max3_f32 v48, v70, v71, v48                              // 000000018C64: D1D30030 04C28F46
	v_max3_f32 v48, v72, v73, v48                              // 000000018C6C: D1D30030 04C29348
	v_max3_f32 v48, v74, v75, v48                              // 000000018C74: D1D30030 04C2974A
	v_max3_f32 v48, v76, v77, v48                              // 000000018C7C: D1D30030 04C29B4C
	v_max3_f32 v48, v78, v79, v48                              // 000000018C84: D1D30030 04C29F4E
	v_mov_b32_e32 v64, 0xff800000                              // 000000018C8C: 7E8002FF FF800000
	v_cmp_eq_u32_e64 s[40:41], v64, v12                        // 000000018C94: D0CA0028 00021940
	s_nop 1                                                    // 000000018C9C: BF800001
	v_max_f32_e32 v15, v48, v12                                // 000000018CA0: 161E1930
	v_mul_f32_e32 v53, s64, v15                                // 000000018CA4: 0A6A1E40
	v_fma_f32 v128, v128, s64, -v53                            // 000000018CA8: D1CB0080 84D48180
	v_fma_f32 v129, v129, s64, -v53                            // 000000018CB0: D1CB0081 84D48181
	v_fma_f32 v130, v130, s64, -v53                            // 000000018CB8: D1CB0082 84D48182
	v_fma_f32 v131, v131, s64, -v53                            // 000000018CC0: D1CB0083 84D48183
	v_fma_f32 v132, v132, s64, -v53                            // 000000018CC8: D1CB0084 84D48184
	v_fma_f32 v133, v133, s64, -v53                            // 000000018CD0: D1CB0085 84D48185
	v_fma_f32 v134, v134, s64, -v53                            // 000000018CD8: D1CB0086 84D48186
	v_fma_f32 v135, v135, s64, -v53                            // 000000018CE0: D1CB0087 84D48187
	v_fma_f32 v136, v136, s64, -v53                            // 000000018CE8: D1CB0088 84D48188
	v_fma_f32 v137, v137, s64, -v53                            // 000000018CF0: D1CB0089 84D48189
	v_fma_f32 v138, v138, s64, -v53                            // 000000018CF8: D1CB008A 84D4818A
	v_fma_f32 v139, v139, s64, -v53                            // 000000018D00: D1CB008B 84D4818B
	v_fma_f32 v140, v140, s64, -v53                            // 000000018D08: D1CB008C 84D4818C
	v_fma_f32 v141, v141, s64, -v53                            // 000000018D10: D1CB008D 84D4818D
	v_fma_f32 v142, v142, s64, -v53                            // 000000018D18: D1CB008E 84D4818E
	v_fma_f32 v143, v143, s64, -v53                            // 000000018D20: D1CB008F 84D4818F
	v_exp_f32_e32 v128, v128                                   // 000000018D28: 7F004180
	v_exp_f32_e32 v129, v129                                   // 000000018D2C: 7F024181
	v_exp_f32_e32 v130, v130                                   // 000000018D30: 7F044182
	v_exp_f32_e32 v131, v131                                   // 000000018D34: 7F064183
	v_exp_f32_e32 v132, v132                                   // 000000018D38: 7F084184
	v_exp_f32_e32 v133, v133                                   // 000000018D3C: 7F0A4185
	v_exp_f32_e32 v134, v134                                   // 000000018D40: 7F0C4186
	v_exp_f32_e32 v135, v135                                   // 000000018D44: 7F0E4187
	v_exp_f32_e32 v136, v136                                   // 000000018D48: 7F104188
	v_exp_f32_e32 v137, v137                                   // 000000018D4C: 7F124189
	v_exp_f32_e32 v138, v138                                   // 000000018D50: 7F14418A
	v_exp_f32_e32 v139, v139                                   // 000000018D54: 7F16418B
	v_exp_f32_e32 v140, v140                                   // 000000018D58: 7F18418C
	v_exp_f32_e32 v141, v141                                   // 000000018D5C: 7F1A418D
	v_exp_f32_e32 v142, v142                                   // 000000018D60: 7F1C418E
	v_exp_f32_e32 v143, v143                                   // 000000018D64: 7F1E418F
	v_mul_f32_dpp v240, v252, v128 quad_perm:[0,0,0,0] row_mask:0xf bank_mask:0xf// 000000018D68: 0BE100FA FF0000FC
	v_mul_f32_dpp v241, v252, v129 quad_perm:[1,1,1,1] row_mask:0xf bank_mask:0xf// 000000018D70: 0BE302FA FF0055FC
	v_mul_f32_dpp v242, v252, v130 quad_perm:[2,2,2,2] row_mask:0xf bank_mask:0xf// 000000018D78: 0BE504FA FF00AAFC
	v_mul_f32_dpp v243, v252, v131 quad_perm:[3,3,3,3] row_mask:0xf bank_mask:0xf// 000000018D80: 0BE706FA FF00FFFC
	v_mul_f32_dpp v244, v253, v132 quad_perm:[0,0,0,0] row_mask:0xf bank_mask:0xf// 000000018D88: 0BE908FA FF0000FD
	v_mul_f32_dpp v245, v253, v133 quad_perm:[1,1,1,1] row_mask:0xf bank_mask:0xf// 000000018D90: 0BEB0AFA FF0055FD
	v_mul_f32_dpp v246, v253, v134 quad_perm:[2,2,2,2] row_mask:0xf bank_mask:0xf// 000000018D98: 0BED0CFA FF00AAFD
	v_mul_f32_dpp v247, v253, v135 quad_perm:[3,3,3,3] row_mask:0xf bank_mask:0xf// 000000018DA0: 0BEF0EFA FF00FFFD
	v_mul_f32_dpp v248, v254, v136 quad_perm:[0,0,0,0] row_mask:0xf bank_mask:0xf// 000000018DA8: 0BF110FA FF0000FE
	v_mul_f32_dpp v249, v254, v137 quad_perm:[1,1,1,1] row_mask:0xf bank_mask:0xf// 000000018DB0: 0BF312FA FF0055FE
	v_mul_f32_dpp v250, v254, v138 quad_perm:[2,2,2,2] row_mask:0xf bank_mask:0xf// 000000018DB8: 0BF514FA FF00AAFE
	v_mul_f32_dpp v251, v254, v139 quad_perm:[3,3,3,3] row_mask:0xf bank_mask:0xf// 000000018DC0: 0BF716FA FF00FFFE
	v_mul_f32_dpp v252, v255, v140 quad_perm:[0,0,0,0] row_mask:0xf bank_mask:0xf// 000000018DC8: 0BF918FA FF0000FF
	v_mul_f32_dpp v253, v255, v141 quad_perm:[1,1,1,1] row_mask:0xf bank_mask:0xf// 000000018DD0: 0BFB1AFA FF0055FF
	v_mul_f32_dpp v254, v255, v142 quad_perm:[2,2,2,2] row_mask:0xf bank_mask:0xf// 000000018DD8: 0BFD1CFA FF00AAFF
	v_mul_f32_dpp v255, v255, v143 quad_perm:[3,3,3,3] row_mask:0xf bank_mask:0xf// 000000018DE0: 0BFF1EFA FF00FFFF
	v_mov_b32_e32 v48, 0x358637bd                              // 000000018DE8: 7E6002FF 358637BD
	v_max3_f32 v48, |v240|, |v241|, v48                        // 000000018DF0: D1D30330 04C3E3F0
	v_max3_f32 v48, |v242|, |v243|, v48                        // 000000018DF8: D1D30330 04C3E7F2
	v_max3_f32 v48, |v244|, |v245|, v48                        // 000000018E00: D1D30330 04C3EBF4
	v_max3_f32 v48, |v246|, |v247|, v48                        // 000000018E08: D1D30330 04C3EFF6
	v_max3_f32 v48, |v248|, |v249|, v48                        // 000000018E10: D1D30330 04C3F3F8
	v_max3_f32 v48, |v250|, |v251|, v48                        // 000000018E18: D1D30330 04C3F7FA
	v_max3_f32 v48, |v252|, |v253|, v48                        // 000000018E20: D1D30330 04C3FBFC
	v_max3_f32 v48, |v254|, |v255|, v48                        // 000000018E28: D1D30330 04C3FFFE
	ds_write_b32 v8, v48 offset:20992                          // 000000018E30: D81A5200 00003008
	v_sub_f32_e32 v50, v12, v15                                // 000000018E38: 04641F0C
	v_cndmask_b32_e64 v50, v50, 0, s[40:41]                    // 000000018E3C: D1000032 00A10132
	v_mov_b32_e32 v12, v15                                     // 000000018E44: 7E18030F
	v_mul_f32_e32 v50, s64, v50                                // 000000018E48: 0A646440
	v_exp_f32_e32 v50, v50                                     // 000000018E4C: 7E644132
	s_waitcnt lgkmcnt(0)                                       // 000000018E50: BF8CC07F
	s_barrier                                                  // 000000018E54: BF8A0000
	ds_read_b32 v64, v7 offset:20992                           // 000000018E58: D86C5200 40000007
	ds_read_b32 v65, v7 offset:21056                           // 000000018E60: D86C5240 41000007
	ds_read_b32 v66, v7 offset:21120                           // 000000018E68: D86C5280 42000007
	ds_read_b32 v67, v7 offset:21184                           // 000000018E70: D86C52C0 43000007
	ds_read_b32 v68, v7 offset:21248                           // 000000018E78: D86C5300 44000007
	ds_read_b32 v69, v7 offset:21312                           // 000000018E80: D86C5340 45000007
	ds_read_b32 v70, v7 offset:21376                           // 000000018E88: D86C5380 46000007
	ds_read_b32 v71, v7 offset:21440                           // 000000018E90: D86C53C0 47000007
	ds_read_b32 v72, v7 offset:21504                           // 000000018E98: D86C5400 48000007
	ds_read_b32 v73, v7 offset:21568                           // 000000018EA0: D86C5440 49000007
	ds_read_b32 v74, v7 offset:21632                           // 000000018EA8: D86C5480 4A000007
	ds_read_b32 v75, v7 offset:21696                           // 000000018EB0: D86C54C0 4B000007
	ds_read_b32 v76, v7 offset:21760                           // 000000018EB8: D86C5500 4C000007
	ds_read_b32 v77, v7 offset:21824                           // 000000018EC0: D86C5540 4D000007
	ds_read_b32 v78, v7 offset:21888                           // 000000018EC8: D86C5580 4E000007
	ds_read_b32 v79, v7 offset:21952                           // 000000018ED0: D86C55C0 4F000007
	v_mul_f32_e32 v39, v50, v39                                // 000000018ED8: 0A4E4F32
	v_mov_b32_e32 v15, v128                                    // 000000018EDC: 7E1E0380
	v_add_f32_e32 v15, v129, v15                               // 000000018EE0: 021E1F81
	v_add_f32_e32 v15, v130, v15                               // 000000018EE4: 021E1F82
	v_add_f32_e32 v15, v131, v15                               // 000000018EE8: 021E1F83
	v_add_f32_e32 v15, v132, v15                               // 000000018EEC: 021E1F84
	v_add_f32_e32 v15, v133, v15                               // 000000018EF0: 021E1F85
	v_add_f32_e32 v15, v134, v15                               // 000000018EF4: 021E1F86
	v_add_f32_e32 v15, v135, v15                               // 000000018EF8: 021E1F87
	v_add_f32_e32 v15, v136, v15                               // 000000018EFC: 021E1F88
	v_add_f32_e32 v15, v137, v15                               // 000000018F00: 021E1F89
	v_add_f32_e32 v15, v138, v15                               // 000000018F04: 021E1F8A
	v_add_f32_e32 v15, v139, v15                               // 000000018F08: 021E1F8B
	v_add_f32_e32 v15, v140, v15                               // 000000018F0C: 021E1F8C
	v_add_f32_e32 v15, v141, v15                               // 000000018F10: 021E1F8D
	v_add_f32_e32 v15, v142, v15                               // 000000018F14: 021E1F8E
	v_add_f32_e32 v15, v143, v15                               // 000000018F18: 021E1F8F
	v_add_f32_e32 v39, v15, v39                                // 000000018F1C: 024E4F0F
	s_waitcnt lgkmcnt(0)                                       // 000000018F20: BF8CC07F
	v_max3_f32 v48, |v64|, |v65|, v48                          // 000000018F24: D1D30330 04C28340
	v_max3_f32 v48, |v66|, |v67|, v48                          // 000000018F2C: D1D30330 04C28742
	v_max3_f32 v48, |v68|, |v69|, v48                          // 000000018F34: D1D30330 04C28B44
	v_max3_f32 v48, |v70|, |v71|, v48                          // 000000018F3C: D1D30330 04C28F46
	v_max3_f32 v48, |v72|, |v73|, v48                          // 000000018F44: D1D30330 04C29348
	v_max3_f32 v48, |v74|, |v75|, v48                          // 000000018F4C: D1D30330 04C2974A
	v_max3_f32 v48, |v76|, |v77|, v48                          // 000000018F54: D1D30330 04C29B4C
	v_max3_f32 v48, |v78|, |v79|, v48                          // 000000018F5C: D1D30330 04C29F4E
	s_nop 2                                                    // 000000018F64: BF800002
	v_rcp_f32_e32 v48, v48                                     // 000000018F68: 7E604530
	s_nop 1                                                    // 000000018F6C: BF800001
	v_mul_f32_e32 v48, 0x42fe0000, v48                         // 000000018F70: 0A6060FF 42FE0000
	v_mul_f32_e32 v128, v48, v240                              // 000000018F78: 0B01E130
	v_mul_f32_e32 v129, v48, v241                              // 000000018F7C: 0B03E330
	v_mul_f32_e32 v130, v48, v242                              // 000000018F80: 0B05E530
	v_mul_f32_e32 v131, v48, v243                              // 000000018F84: 0B07E730
	v_mul_f32_e32 v132, v48, v244                              // 000000018F88: 0B09E930
	v_mul_f32_e32 v133, v48, v245                              // 000000018F8C: 0B0BEB30
	v_mul_f32_e32 v134, v48, v246                              // 000000018F90: 0B0DED30
	v_mul_f32_e32 v135, v48, v247                              // 000000018F94: 0B0FEF30
	v_mul_f32_e32 v136, v48, v248                              // 000000018F98: 0B11F130
	v_mul_f32_e32 v137, v48, v249                              // 000000018F9C: 0B13F330
	v_mul_f32_e32 v138, v48, v250                              // 000000018FA0: 0B15F530
	v_mul_f32_e32 v139, v48, v251                              // 000000018FA4: 0B17F730
	v_mul_f32_e32 v140, v48, v252                              // 000000018FA8: 0B19F930
	v_mul_f32_e32 v141, v48, v253                              // 000000018FAC: 0B1BFB30
	v_mul_f32_e32 v142, v48, v254                              // 000000018FB0: 0B1DFD30
	v_mul_f32_e32 v143, v48, v255                              // 000000018FB4: 0B1FFF30
	v_cvt_i32_f32_e32 v128, v128                               // 000000018FB8: 7F001180
	v_cvt_i32_f32_e32 v129, v129                               // 000000018FBC: 7F021181
	v_cvt_i32_f32_e32 v130, v130                               // 000000018FC0: 7F041182
	v_cvt_i32_f32_e32 v131, v131                               // 000000018FC4: 7F061183
	v_cvt_i32_f32_e32 v132, v132                               // 000000018FC8: 7F081184
	v_cvt_i32_f32_e32 v133, v133                               // 000000018FCC: 7F0A1185
	v_cvt_i32_f32_e32 v134, v134                               // 000000018FD0: 7F0C1186
	v_cvt_i32_f32_e32 v135, v135                               // 000000018FD4: 7F0E1187
	v_cvt_i32_f32_e32 v136, v136                               // 000000018FD8: 7F101188
	v_cvt_i32_f32_e32 v137, v137                               // 000000018FDC: 7F121189
	v_cvt_i32_f32_e32 v138, v138                               // 000000018FE0: 7F14118A
	v_cvt_i32_f32_e32 v139, v139                               // 000000018FE4: 7F16118B
	v_cvt_i32_f32_e32 v140, v140                               // 000000018FE8: 7F18118C
	v_cvt_i32_f32_e32 v141, v141                               // 000000018FEC: 7F1A118D
	v_cvt_i32_f32_e32 v142, v142                               // 000000018FF0: 7F1C118E
	v_cvt_i32_f32_e32 v143, v143                               // 000000018FF4: 7F1E118F
	v_perm_b32 v128, v129, v128, s53                           // 000000018FF8: D1ED0080 00D70181
	v_perm_b32 v128, v130, v128, s54                           // 000000019000: D1ED0080 00DB0182
	v_perm_b32 v128, v131, v128, s55                           // 000000019008: D1ED0080 00DF0183
	v_perm_b32 v129, v133, v132, s53                           // 000000019010: D1ED0081 00D70985
	v_perm_b32 v129, v134, v129, s54                           // 000000019018: D1ED0081 00DB0386
	v_perm_b32 v129, v135, v129, s55                           // 000000019020: D1ED0081 00DF0387
	v_perm_b32 v130, v137, v136, s53                           // 000000019028: D1ED0082 00D71189
	v_perm_b32 v130, v138, v130, s54                           // 000000019030: D1ED0082 00DB058A
	v_perm_b32 v130, v139, v130, s55                           // 000000019038: D1ED0082 00DF058B
	v_perm_b32 v131, v141, v140, s53                           // 000000019040: D1ED0083 00D7198D
	v_perm_b32 v131, v142, v131, s54                           // 000000019048: D1ED0083 00DB078E
	v_perm_b32 v131, v143, v131, s55                           // 000000019050: D1ED0083 00DF078F
	ds_write_b32 v10, v128 offset:29184                        // 000000019058: D81A7200 0000800A
	ds_write_b32 v10, v129 offset:30208                        // 000000019060: D81A7600 0000810A
	ds_write_b32 v10, v130 offset:31232                        // 000000019068: D81A7A00 0000820A
	ds_write_b32 v10, v131 offset:32256                        // 000000019070: D81A7E00 0000830A
	v_add_f32_e32 v216, v216, v184                             // 000000019078: 03B171D8
	v_add_f32_e32 v217, v217, v185                             // 00000001907C: 03B373D9
	v_add_f32_e32 v218, v218, v186                             // 000000019080: 03B575DA
	v_add_f32_e32 v219, v219, v187                             // 000000019084: 03B777DB
	v_add_f32_e32 v220, v220, v188                             // 000000019088: 03B979DC
	v_add_f32_e32 v221, v221, v189                             // 00000001908C: 03BB7BDD
	v_add_f32_e32 v222, v222, v190                             // 000000019090: 03BD7DDE
	v_add_f32_e32 v223, v223, v191                             // 000000019094: 03BF7FDF
	v_rcp_f32_e32 v45, v48                                     // 000000019098: 7E5A4530
	s_waitcnt lgkmcnt(0)                                       // 00000001909C: BF8CC07F
	s_barrier                                                  // 0000000190A0: BF8A0000
	ds_read_b64 v[128:129], v9 offset:29184                    // 0000000190A4: D8EC7200 80000009
	ds_read_b64 v[130:131], v9 offset:29312                    // 0000000190AC: D8EC7280 82000009
	ds_read_b64 v[132:133], v9 offset:30208                    // 0000000190B4: D8EC7600 84000009
	ds_read_b64 v[134:135], v9 offset:30336                    // 0000000190BC: D8EC7680 86000009
	ds_read_b64 v[136:137], v9 offset:31232                    // 0000000190C4: D8EC7A00 88000009
	ds_read_b64 v[138:139], v9 offset:31360                    // 0000000190CC: D8EC7A80 8A000009
	ds_read_b64 v[140:141], v9 offset:32256                    // 0000000190D4: D8EC7E00 8C000009
	ds_read_b64 v[142:143], v9 offset:32384                    // 0000000190DC: D8EC7E80 8E000009
	v_mov_b32_dpp v64, v43 row_shr:4 row_mask:0xf bank_mask:0xf// 0000000190E4: 7E8002FA FF01142B
	v_mov_b32_dpp v65, v43 row_shl:4 row_mask:0xf bank_mask:0xf// 0000000190EC: 7E8202FA FF01042B
	v_cndmask_b32_e64 v248, v43, v64, s[44:45]                 // 0000000190F4: D10000F8 00B2812B
	v_cndmask_b32_e64 v249, v65, v43, s[44:45]                 // 0000000190FC: D10000F9 00B25741
	v_mov_b32_dpp v64, v248 row_shr:8 row_mask:0xf bank_mask:0xf// 000000019104: 7E8002FA FF0118F8
	v_mov_b32_dpp v65, v248 row_shl:8 row_mask:0xf bank_mask:0xf// 00000001910C: 7E8202FA FF0108F8
	v_mov_b32_dpp v66, v249 row_shr:8 row_mask:0xf bank_mask:0xf// 000000019114: 7E8402FA FF0118F9
	v_mov_b32_dpp v67, v249 row_shl:8 row_mask:0xf bank_mask:0xf// 00000001911C: 7E8602FA FF0108F9
	v_mov_b32_e32 v68, v248                                    // 000000019124: 7E8803F8
	v_mov_b32_e32 v69, v249                                    // 000000019128: 7E8A03F9
	v_cndmask_b32_e64 v248, v68, v64, s[42:43]                 // 00000001912C: D10000F8 00AA8144
	v_cndmask_b32_e64 v250, v68, v65, s[78:79]                 // 000000019134: D10000FA 013A8344
	v_cndmask_b32_e64 v249, v69, v66, s[42:43]                 // 00000001913C: D10000F9 00AA8545
	v_cndmask_b32_e64 v251, v69, v67, s[78:79]                 // 000000019144: D10000FB 013A8745
	v_mov_b32_dpp v64, v58 row_shr:4 row_mask:0xf bank_mask:0xf// 00000001914C: 7E8002FA FF01143A
	v_mov_b32_dpp v65, v58 row_shl:4 row_mask:0xf bank_mask:0xf// 000000019154: 7E8202FA FF01043A
	v_cndmask_b32_e64 v252, v58, v64, s[44:45]                 // 00000001915C: D10000FC 00B2813A
	v_cndmask_b32_e64 v253, v65, v58, s[44:45]                 // 000000019164: D10000FD 00B27541
	v_mov_b32_dpp v64, v252 row_shr:8 row_mask:0xf bank_mask:0xf// 00000001916C: 7E8002FA FF0118FC
	v_mov_b32_dpp v65, v252 row_shl:8 row_mask:0xf bank_mask:0xf// 000000019174: 7E8202FA FF0108FC
	v_mov_b32_dpp v66, v253 row_shr:8 row_mask:0xf bank_mask:0xf// 00000001917C: 7E8402FA FF0118FD
	v_mov_b32_dpp v67, v253 row_shl:8 row_mask:0xf bank_mask:0xf// 000000019184: 7E8602FA FF0108FD
	v_mov_b32_e32 v68, v252                                    // 00000001918C: 7E8803FC
	v_mov_b32_e32 v69, v253                                    // 000000019190: 7E8A03FD
	v_cndmask_b32_e64 v252, v68, v64, s[42:43]                 // 000000019194: D10000FC 00AA8144
	v_cndmask_b32_e64 v254, v68, v65, s[78:79]                 // 00000001919C: D10000FE 013A8344
	v_cndmask_b32_e64 v253, v69, v66, s[42:43]                 // 0000000191A4: D10000FD 00AA8545
	v_cndmask_b32_e64 v255, v69, v67, s[78:79]                 // 0000000191AC: D10000FF 013A8745
	v_cvt_f32_i32_e32 v144, v144                               // 0000000191B4: 7F200B90
	v_cvt_f32_i32_e32 v145, v145                               // 0000000191B8: 7F220B91
	v_cvt_f32_i32_e32 v146, v146                               // 0000000191BC: 7F240B92
	v_cvt_f32_i32_e32 v147, v147                               // 0000000191C0: 7F260B93
	v_cvt_f32_i32_e32 v148, v148                               // 0000000191C4: 7F280B94
	v_cvt_f32_i32_e32 v149, v149                               // 0000000191C8: 7F2A0B95
	v_cvt_f32_i32_e32 v150, v150                               // 0000000191CC: 7F2C0B96
	v_cvt_f32_i32_e32 v151, v151                               // 0000000191D0: 7F2E0B97
	v_cvt_f32_i32_e32 v152, v152                               // 0000000191D4: 7F300B98
	v_cvt_f32_i32_e32 v153, v153                               // 0000000191D8: 7F320B99
	v_cvt_f32_i32_e32 v154, v154                               // 0000000191DC: 7F340B9A
	v_cvt_f32_i32_e32 v155, v155                               // 0000000191E0: 7F360B9B
	v_cvt_f32_i32_e32 v156, v156                               // 0000000191E4: 7F380B9C
	v_cvt_f32_i32_e32 v157, v157                               // 0000000191E8: 7F3A0B9D
	v_cvt_f32_i32_e32 v158, v158                               // 0000000191EC: 7F3C0B9E
	v_cvt_f32_i32_e32 v159, v159                               // 0000000191F0: 7F3E0B9F
	v_mul_f32_e32 v144, v20, v144                              // 0000000191F4: 0B212114
	v_mul_f32_e32 v145, v20, v145                              // 0000000191F8: 0B232314
	v_mul_f32_e32 v146, v20, v146                              // 0000000191FC: 0B252514
	v_mul_f32_e32 v147, v20, v147                              // 000000019200: 0B272714
	v_mul_f32_e32 v148, v20, v148                              // 000000019204: 0B292914
	v_mul_f32_e32 v149, v20, v149                              // 000000019208: 0B2B2B14
	v_mul_f32_e32 v150, v20, v150                              // 00000001920C: 0B2D2D14
	v_mul_f32_e32 v151, v20, v151                              // 000000019210: 0B2F2F14
	v_mul_f32_e32 v152, v20, v152                              // 000000019214: 0B313114
	v_mul_f32_e32 v153, v20, v153                              // 000000019218: 0B333314
	v_mul_f32_e32 v154, v20, v154                              // 00000001921C: 0B353514
	v_mul_f32_e32 v155, v20, v155                              // 000000019220: 0B373714
	v_mul_f32_e32 v156, v20, v156                              // 000000019224: 0B393914
	v_mul_f32_e32 v157, v20, v157                              // 000000019228: 0B3B3B14
	v_mul_f32_e32 v158, v20, v158                              // 00000001922C: 0B3D3D14
	v_mul_f32_e32 v159, v20, v159                              // 000000019230: 0B3F3F14
	v_mul_f32_dpp v144, v248, v144 quad_perm:[0,0,0,0] row_mask:0xf bank_mask:0xf// 000000019234: 0B2120FA FF0000F8
	v_mul_f32_dpp v145, v248, v145 quad_perm:[1,1,1,1] row_mask:0xf bank_mask:0xf// 00000001923C: 0B2322FA FF0055F8
	v_mul_f32_dpp v146, v248, v146 quad_perm:[2,2,2,2] row_mask:0xf bank_mask:0xf// 000000019244: 0B2524FA FF00AAF8
	v_mul_f32_dpp v147, v248, v147 quad_perm:[3,3,3,3] row_mask:0xf bank_mask:0xf// 00000001924C: 0B2726FA FF00FFF8
	v_mul_f32_dpp v148, v249, v148 quad_perm:[0,0,0,0] row_mask:0xf bank_mask:0xf// 000000019254: 0B2928FA FF0000F9
	v_mul_f32_dpp v149, v249, v149 quad_perm:[1,1,1,1] row_mask:0xf bank_mask:0xf// 00000001925C: 0B2B2AFA FF0055F9
	v_mul_f32_dpp v150, v249, v150 quad_perm:[2,2,2,2] row_mask:0xf bank_mask:0xf// 000000019264: 0B2D2CFA FF00AAF9
	v_mul_f32_dpp v151, v249, v151 quad_perm:[3,3,3,3] row_mask:0xf bank_mask:0xf// 00000001926C: 0B2F2EFA FF00FFF9
	v_mul_f32_dpp v152, v250, v152 quad_perm:[0,0,0,0] row_mask:0xf bank_mask:0xf// 000000019274: 0B3130FA FF0000FA
	v_mul_f32_dpp v153, v250, v153 quad_perm:[1,1,1,1] row_mask:0xf bank_mask:0xf// 00000001927C: 0B3332FA FF0055FA
	v_mul_f32_dpp v154, v250, v154 quad_perm:[2,2,2,2] row_mask:0xf bank_mask:0xf// 000000019284: 0B3534FA FF00AAFA
	v_mul_f32_dpp v155, v250, v155 quad_perm:[3,3,3,3] row_mask:0xf bank_mask:0xf// 00000001928C: 0B3736FA FF00FFFA
	v_mul_f32_dpp v156, v251, v156 quad_perm:[0,0,0,0] row_mask:0xf bank_mask:0xf// 000000019294: 0B3938FA FF0000FB
	v_mul_f32_dpp v157, v251, v157 quad_perm:[1,1,1,1] row_mask:0xf bank_mask:0xf// 00000001929C: 0B3B3AFA FF0055FB
	v_mul_f32_dpp v158, v251, v158 quad_perm:[2,2,2,2] row_mask:0xf bank_mask:0xf// 0000000192A4: 0B3D3CFA FF00AAFB
	v_mul_f32_dpp v159, v251, v159 quad_perm:[3,3,3,3] row_mask:0xf bank_mask:0xf// 0000000192AC: 0B3F3EFA FF00FFFB
	s_cmp_le_i32 s90, s89                                      // 0000000192B4: BF05595A
	s_cbranch_scc1 label_5CA0                                  // 0000000192B8: BF850071
	v_mov_b32_e32 v66, 0xff800000                              // 0000000192BC: 7E8402FF FF800000
	s_mov_b32 s60, s90                                         // 0000000192C4: BEBC005A
	s_add_u32 s61, s89, 0xff                                   // 0000000192C8: 803DFF59 000000FF
	v_mov_b32_e32 v64, s61                                     // 0000000192D0: 7E80023D
	v_lshrrev_b32_e32 v240, 4, v0                              // 0000000192D4: 21E00084
	v_mul_i32_i24_e32 v240, 4, v240                            // 0000000192D8: 0DE1E084
	v_add_u32_e32 v240, s60, v240                              // 0000000192DC: 69E1E03C
	s_mov_b32 s61, 2                                           // 0000000192E0: BEBD0082
	s_mul_i32 s60, 16, s7                                      // 0000000192E4: 923C0790
	v_sub_u32_e64 v240, v240, s61                              // 0000000192E8: D13500F0 00007BF0
	v_add_u32_e32 v240, s60, v240                              // 0000000192F0: 69E1E03C
	v_add_u32_e32 v241, 1, v240                                // 0000000192F4: 69E3E081
	v_add_u32_e32 v242, 2, v240                                // 0000000192F8: 69E5E082
	v_add_u32_e32 v243, 3, v240                                // 0000000192FC: 69E7E083
	v_cmp_le_u32_e64 s[40:41], v240, v64                       // 000000019300: D0CB0028 000281F0
	v_add_u32_e32 v240, 64, v240                               // 000000019308: 69E1E0C0
	s_nop 0                                                    // 00000001930C: BF800000
	v_cndmask_b32_e64 v144, v66, v144, s[40:41]                // 000000019310: D1000090 00A32142
	v_cmp_le_u32_e64 s[40:41], v241, v64                       // 000000019318: D0CB0028 000281F1
	v_add_u32_e32 v241, 64, v241                               // 000000019320: 69E3E2C0
	s_nop 0                                                    // 000000019324: BF800000
	v_cndmask_b32_e64 v145, v66, v145, s[40:41]                // 000000019328: D1000091 00A32342
	v_cmp_le_u32_e64 s[40:41], v242, v64                       // 000000019330: D0CB0028 000281F2
	v_add_u32_e32 v242, 64, v242                               // 000000019338: 69E5E4C0
	s_nop 0                                                    // 00000001933C: BF800000
	v_cndmask_b32_e64 v146, v66, v146, s[40:41]                // 000000019340: D1000092 00A32542
	v_cmp_le_u32_e64 s[40:41], v243, v64                       // 000000019348: D0CB0028 000281F3
	v_add_u32_e32 v243, 64, v243                               // 000000019350: 69E7E6C0
	s_nop 0                                                    // 000000019354: BF800000
	v_cndmask_b32_e64 v147, v66, v147, s[40:41]                // 000000019358: D1000093 00A32742
	v_cmp_le_u32_e64 s[40:41], v240, v64                       // 000000019360: D0CB0028 000281F0
	v_add_u32_e32 v240, 64, v240                               // 000000019368: 69E1E0C0
	s_nop 0                                                    // 00000001936C: BF800000
	v_cndmask_b32_e64 v148, v66, v148, s[40:41]                // 000000019370: D1000094 00A32942
	v_cmp_le_u32_e64 s[40:41], v241, v64                       // 000000019378: D0CB0028 000281F1
	v_add_u32_e32 v241, 64, v241                               // 000000019380: 69E3E2C0
	s_nop 0                                                    // 000000019384: BF800000
	v_cndmask_b32_e64 v149, v66, v149, s[40:41]                // 000000019388: D1000095 00A32B42
	v_cmp_le_u32_e64 s[40:41], v242, v64                       // 000000019390: D0CB0028 000281F2
	v_add_u32_e32 v242, 64, v242                               // 000000019398: 69E5E4C0
	s_nop 0                                                    // 00000001939C: BF800000
	v_cndmask_b32_e64 v150, v66, v150, s[40:41]                // 0000000193A0: D1000096 00A32D42
	v_cmp_le_u32_e64 s[40:41], v243, v64                       // 0000000193A8: D0CB0028 000281F3
	v_add_u32_e32 v243, 64, v243                               // 0000000193B0: 69E7E6C0
	s_nop 0                                                    // 0000000193B4: BF800000
	v_cndmask_b32_e64 v151, v66, v151, s[40:41]                // 0000000193B8: D1000097 00A32F42
	v_cmp_le_u32_e64 s[40:41], v240, v64                       // 0000000193C0: D0CB0028 000281F0
	v_add_u32_e32 v240, 64, v240                               // 0000000193C8: 69E1E0C0
	s_nop 0                                                    // 0000000193CC: BF800000
	v_cndmask_b32_e64 v152, v66, v152, s[40:41]                // 0000000193D0: D1000098 00A33142
	v_cmp_le_u32_e64 s[40:41], v241, v64                       // 0000000193D8: D0CB0028 000281F1
	v_add_u32_e32 v241, 64, v241                               // 0000000193E0: 69E3E2C0
	s_nop 0                                                    // 0000000193E4: BF800000
	v_cndmask_b32_e64 v153, v66, v153, s[40:41]                // 0000000193E8: D1000099 00A33342
	v_cmp_le_u32_e64 s[40:41], v242, v64                       // 0000000193F0: D0CB0028 000281F2
	v_add_u32_e32 v242, 64, v242                               // 0000000193F8: 69E5E4C0
	s_nop 0                                                    // 0000000193FC: BF800000
	v_cndmask_b32_e64 v154, v66, v154, s[40:41]                // 000000019400: D100009A 00A33542
	v_cmp_le_u32_e64 s[40:41], v243, v64                       // 000000019408: D0CB0028 000281F3
	v_add_u32_e32 v243, 64, v243                               // 000000019410: 69E7E6C0
	s_nop 0                                                    // 000000019414: BF800000
	v_cndmask_b32_e64 v155, v66, v155, s[40:41]                // 000000019418: D100009B 00A33742
	v_cmp_le_u32_e64 s[40:41], v240, v64                       // 000000019420: D0CB0028 000281F0
	v_add_u32_e32 v240, 64, v240                               // 000000019428: 69E1E0C0
	s_nop 0                                                    // 00000001942C: BF800000
	v_cndmask_b32_e64 v156, v66, v156, s[40:41]                // 000000019430: D100009C 00A33942
	v_cmp_le_u32_e64 s[40:41], v241, v64                       // 000000019438: D0CB0028 000281F1
	v_add_u32_e32 v241, 64, v241                               // 000000019440: 69E3E2C0
	s_nop 0                                                    // 000000019444: BF800000
	v_cndmask_b32_e64 v157, v66, v157, s[40:41]                // 000000019448: D100009D 00A33B42
	v_cmp_le_u32_e64 s[40:41], v242, v64                       // 000000019450: D0CB0028 000281F2
	v_add_u32_e32 v242, 64, v242                               // 000000019458: 69E5E4C0
	s_nop 0                                                    // 00000001945C: BF800000
	v_cndmask_b32_e64 v158, v66, v158, s[40:41]                // 000000019460: D100009E 00A33D42
	v_cmp_le_u32_e64 s[40:41], v243, v64                       // 000000019468: D0CB0028 000281F3
	v_add_u32_e32 v243, 64, v243                               // 000000019470: 69E7E6C0
	s_nop 0                                                    // 000000019474: BF800000
	v_cndmask_b32_e64 v159, v66, v159, s[40:41]                // 000000019478: D100009F 00A33F42

0000000000019480 <label_5CA0>:
	s_add_u32 s90, s91, s90                                    // 000000019480: 805A5A5B
	v_mov_b32_e32 v48, v144                                    // 000000019484: 7E600390
	v_max3_f32 v48, v144, v145, v48                            // 000000019488: D1D30030 04C32390
	v_max3_f32 v48, v146, v147, v48                            // 000000019490: D1D30030 04C32792
	v_max3_f32 v48, v148, v149, v48                            // 000000019498: D1D30030 04C32B94
	v_max3_f32 v48, v150, v151, v48                            // 0000000194A0: D1D30030 04C32F96
	v_max3_f32 v48, v152, v153, v48                            // 0000000194A8: D1D30030 04C33398
	v_max3_f32 v48, v154, v155, v48                            // 0000000194B0: D1D30030 04C3379A
	v_max3_f32 v48, v156, v157, v48                            // 0000000194B8: D1D30030 04C33B9C
	v_max3_f32 v48, v158, v159, v48                            // 0000000194C0: D1D30030 04C33F9E
	ds_write_b32 v8, v48 offset:16896                          // 0000000194C8: D81A4200 00003008
	v_mul_f32_e32 v224, v51, v224                              // 0000000194D0: 0BC1C133
	v_mul_f32_e32 v225, v51, v225                              // 0000000194D4: 0BC3C333
	v_mul_f32_e32 v226, v51, v226                              // 0000000194D8: 0BC5C533
	v_mul_f32_e32 v227, v51, v227                              // 0000000194DC: 0BC7C733
	v_mul_f32_e32 v228, v51, v228                              // 0000000194E0: 0BC9C933
	v_mul_f32_e32 v229, v51, v229                              // 0000000194E4: 0BCBCB33
	v_mul_f32_e32 v230, v51, v230                              // 0000000194E8: 0BCDCD33
	v_mul_f32_e32 v231, v51, v231                              // 0000000194EC: 0BCFCF33
	s_waitcnt lgkmcnt(0)                                       // 0000000194F0: BF8CC07F
	s_barrier                                                  // 0000000194F4: BF8A0000
	ds_read_b32 v64, v7 offset:16896                           // 0000000194F8: D86C4200 40000007
	ds_read_b32 v65, v7 offset:16960                           // 000000019500: D86C4240 41000007
	ds_read_b32 v66, v7 offset:17024                           // 000000019508: D86C4280 42000007
	ds_read_b32 v67, v7 offset:17088                           // 000000019510: D86C42C0 43000007
	ds_read_b32 v68, v7 offset:17152                           // 000000019518: D86C4300 44000007
	ds_read_b32 v69, v7 offset:17216                           // 000000019520: D86C4340 45000007
	ds_read_b32 v70, v7 offset:17280                           // 000000019528: D86C4380 46000007
	ds_read_b32 v71, v7 offset:17344                           // 000000019530: D86C43C0 47000007
	ds_read_b32 v72, v7 offset:17408                           // 000000019538: D86C4400 48000007
	ds_read_b32 v73, v7 offset:17472                           // 000000019540: D86C4440 49000007
	ds_read_b32 v74, v7 offset:17536                           // 000000019548: D86C4480 4A000007
	ds_read_b32 v75, v7 offset:17600                           // 000000019550: D86C44C0 4B000007
	ds_read_b32 v76, v7 offset:17664                           // 000000019558: D86C4500 4C000007
	ds_read_b32 v77, v7 offset:17728                           // 000000019560: D86C4540 4D000007
	ds_read_b32 v78, v7 offset:17792                           // 000000019568: D86C4580 4E000007
	ds_read_b32 v79, v7 offset:17856                           // 000000019570: D86C45C0 4F000007
	v_cvt_f32_i32_e32 v192, v192                               // 000000019578: 7F800BC0
	v_cvt_f32_i32_e32 v193, v193                               // 00000001957C: 7F820BC1
	v_cvt_f32_i32_e32 v194, v194                               // 000000019580: 7F840BC2
	v_cvt_f32_i32_e32 v195, v195                               // 000000019584: 7F860BC3
	v_cvt_f32_i32_e32 v196, v196                               // 000000019588: 7F880BC4
	v_cvt_f32_i32_e32 v197, v197                               // 00000001958C: 7F8A0BC5
	v_cvt_f32_i32_e32 v198, v198                               // 000000019590: 7F8C0BC6
	v_cvt_f32_i32_e32 v199, v199                               // 000000019594: 7F8E0BC7
	v_mul_f32_e32 v192, v46, v192                              // 000000019598: 0B81812E
	v_mul_f32_e32 v193, v46, v193                              // 00000001959C: 0B83832E
	v_mul_f32_e32 v194, v46, v194                              // 0000000195A0: 0B85852E
	v_mul_f32_e32 v195, v46, v195                              // 0000000195A4: 0B87872E
	v_mul_f32_e32 v196, v46, v196                              // 0000000195A8: 0B89892E
	v_mul_f32_e32 v197, v46, v197                              // 0000000195AC: 0B8B8B2E
	v_mul_f32_e32 v198, v46, v198                              // 0000000195B0: 0B8D8D2E
	v_mul_f32_e32 v199, v46, v199                              // 0000000195B4: 0B8F8F2E
	s_waitcnt lgkmcnt(0)                                       // 0000000195B8: BF8CC07F
	v_max3_f32 v48, v64, v65, v48                              // 0000000195BC: D1D30030 04C28340
	v_max3_f32 v48, v66, v67, v48                              // 0000000195C4: D1D30030 04C28742
	v_max3_f32 v48, v68, v69, v48                              // 0000000195CC: D1D30030 04C28B44
	v_max3_f32 v48, v70, v71, v48                              // 0000000195D4: D1D30030 04C28F46
	v_max3_f32 v48, v72, v73, v48                              // 0000000195DC: D1D30030 04C29348
	v_max3_f32 v48, v74, v75, v48                              // 0000000195E4: D1D30030 04C2974A
	v_max3_f32 v48, v76, v77, v48                              // 0000000195EC: D1D30030 04C29B4C
	v_max3_f32 v48, v78, v79, v48                              // 0000000195F4: D1D30030 04C29F4E
	v_mov_b32_e32 v64, 0xff800000                              // 0000000195FC: 7E8002FF FF800000
	v_cmp_eq_u32_e64 s[40:41], v64, v13                        // 000000019604: D0CA0028 00021B40
	s_nop 1                                                    // 00000001960C: BF800001
	v_max_f32_e32 v15, v48, v13                                // 000000019610: 161E1B30
	v_mul_f32_e32 v53, s64, v15                                // 000000019614: 0A6A1E40
	v_fma_f32 v144, v144, s64, -v53                            // 000000019618: D1CB0090 84D48190
	v_fma_f32 v145, v145, s64, -v53                            // 000000019620: D1CB0091 84D48191
	v_fma_f32 v146, v146, s64, -v53                            // 000000019628: D1CB0092 84D48192
	v_fma_f32 v147, v147, s64, -v53                            // 000000019630: D1CB0093 84D48193
	v_fma_f32 v148, v148, s64, -v53                            // 000000019638: D1CB0094 84D48194
	v_fma_f32 v149, v149, s64, -v53                            // 000000019640: D1CB0095 84D48195
	v_fma_f32 v150, v150, s64, -v53                            // 000000019648: D1CB0096 84D48196
	v_fma_f32 v151, v151, s64, -v53                            // 000000019650: D1CB0097 84D48197
	v_fma_f32 v152, v152, s64, -v53                            // 000000019658: D1CB0098 84D48198
	v_fma_f32 v153, v153, s64, -v53                            // 000000019660: D1CB0099 84D48199
	v_fma_f32 v154, v154, s64, -v53                            // 000000019668: D1CB009A 84D4819A
	v_fma_f32 v155, v155, s64, -v53                            // 000000019670: D1CB009B 84D4819B
	v_fma_f32 v156, v156, s64, -v53                            // 000000019678: D1CB009C 84D4819C
	v_fma_f32 v157, v157, s64, -v53                            // 000000019680: D1CB009D 84D4819D
	v_fma_f32 v158, v158, s64, -v53                            // 000000019688: D1CB009E 84D4819E
	v_fma_f32 v159, v159, s64, -v53                            // 000000019690: D1CB009F 84D4819F
	v_exp_f32_e32 v144, v144                                   // 000000019698: 7F204190
	v_exp_f32_e32 v145, v145                                   // 00000001969C: 7F224191
	v_exp_f32_e32 v146, v146                                   // 0000000196A0: 7F244192
	v_exp_f32_e32 v147, v147                                   // 0000000196A4: 7F264193
	v_exp_f32_e32 v148, v148                                   // 0000000196A8: 7F284194
	v_exp_f32_e32 v149, v149                                   // 0000000196AC: 7F2A4195
	v_exp_f32_e32 v150, v150                                   // 0000000196B0: 7F2C4196
	v_exp_f32_e32 v151, v151                                   // 0000000196B4: 7F2E4197
	v_exp_f32_e32 v152, v152                                   // 0000000196B8: 7F304198
	v_exp_f32_e32 v153, v153                                   // 0000000196BC: 7F324199
	v_exp_f32_e32 v154, v154                                   // 0000000196C0: 7F34419A
	v_exp_f32_e32 v155, v155                                   // 0000000196C4: 7F36419B
	v_exp_f32_e32 v156, v156                                   // 0000000196C8: 7F38419C
	v_exp_f32_e32 v157, v157                                   // 0000000196CC: 7F3A419D
	v_exp_f32_e32 v158, v158                                   // 0000000196D0: 7F3C419E
	v_exp_f32_e32 v159, v159                                   // 0000000196D4: 7F3E419F
	v_mul_f32_dpp v240, v252, v144 quad_perm:[0,0,0,0] row_mask:0xf bank_mask:0xf// 0000000196D8: 0BE120FA FF0000FC
	v_mul_f32_dpp v241, v252, v145 quad_perm:[1,1,1,1] row_mask:0xf bank_mask:0xf// 0000000196E0: 0BE322FA FF0055FC
	v_mul_f32_dpp v242, v252, v146 quad_perm:[2,2,2,2] row_mask:0xf bank_mask:0xf// 0000000196E8: 0BE524FA FF00AAFC
	v_mul_f32_dpp v243, v252, v147 quad_perm:[3,3,3,3] row_mask:0xf bank_mask:0xf// 0000000196F0: 0BE726FA FF00FFFC
	v_mul_f32_dpp v244, v253, v148 quad_perm:[0,0,0,0] row_mask:0xf bank_mask:0xf// 0000000196F8: 0BE928FA FF0000FD
	v_mul_f32_dpp v245, v253, v149 quad_perm:[1,1,1,1] row_mask:0xf bank_mask:0xf// 000000019700: 0BEB2AFA FF0055FD
	v_mul_f32_dpp v246, v253, v150 quad_perm:[2,2,2,2] row_mask:0xf bank_mask:0xf// 000000019708: 0BED2CFA FF00AAFD
	v_mul_f32_dpp v247, v253, v151 quad_perm:[3,3,3,3] row_mask:0xf bank_mask:0xf// 000000019710: 0BEF2EFA FF00FFFD
	v_mul_f32_dpp v248, v254, v152 quad_perm:[0,0,0,0] row_mask:0xf bank_mask:0xf// 000000019718: 0BF130FA FF0000FE
	v_mul_f32_dpp v249, v254, v153 quad_perm:[1,1,1,1] row_mask:0xf bank_mask:0xf// 000000019720: 0BF332FA FF0055FE
	v_mul_f32_dpp v250, v254, v154 quad_perm:[2,2,2,2] row_mask:0xf bank_mask:0xf// 000000019728: 0BF534FA FF00AAFE
	v_mul_f32_dpp v251, v254, v155 quad_perm:[3,3,3,3] row_mask:0xf bank_mask:0xf// 000000019730: 0BF736FA FF00FFFE
	v_mul_f32_dpp v252, v255, v156 quad_perm:[0,0,0,0] row_mask:0xf bank_mask:0xf// 000000019738: 0BF938FA FF0000FF
	v_mul_f32_dpp v253, v255, v157 quad_perm:[1,1,1,1] row_mask:0xf bank_mask:0xf// 000000019740: 0BFB3AFA FF0055FF
	v_mul_f32_dpp v254, v255, v158 quad_perm:[2,2,2,2] row_mask:0xf bank_mask:0xf// 000000019748: 0BFD3CFA FF00AAFF
	v_mul_f32_dpp v255, v255, v159 quad_perm:[3,3,3,3] row_mask:0xf bank_mask:0xf// 000000019750: 0BFF3EFA FF00FFFF
	v_mov_b32_e32 v48, 0x358637bd                              // 000000019758: 7E6002FF 358637BD
	v_max3_f32 v48, |v240|, |v241|, v48                        // 000000019760: D1D30330 04C3E3F0
	v_max3_f32 v48, |v242|, |v243|, v48                        // 000000019768: D1D30330 04C3E7F2
	v_max3_f32 v48, |v244|, |v245|, v48                        // 000000019770: D1D30330 04C3EBF4
	v_max3_f32 v48, |v246|, |v247|, v48                        // 000000019778: D1D30330 04C3EFF6
	v_max3_f32 v48, |v248|, |v249|, v48                        // 000000019780: D1D30330 04C3F3F8
	v_max3_f32 v48, |v250|, |v251|, v48                        // 000000019788: D1D30330 04C3F7FA
	v_max3_f32 v48, |v252|, |v253|, v48                        // 000000019790: D1D30330 04C3FBFC
	v_max3_f32 v48, |v254|, |v255|, v48                        // 000000019798: D1D30330 04C3FFFE
	ds_write_b32 v8, v48 offset:20992                          // 0000000197A0: D81A5200 00003008
	v_sub_f32_e32 v51, v13, v15                                // 0000000197A8: 04661F0D
	v_cndmask_b32_e64 v51, v51, 0, s[40:41]                    // 0000000197AC: D1000033 00A10133
	v_mov_b32_e32 v13, v15                                     // 0000000197B4: 7E1A030F
	v_mul_f32_e32 v51, s64, v51                                // 0000000197B8: 0A666640
	v_exp_f32_e32 v51, v51                                     // 0000000197BC: 7E664133
	s_waitcnt lgkmcnt(0)                                       // 0000000197C0: BF8CC07F
	s_barrier                                                  // 0000000197C4: BF8A0000
	ds_read_b32 v64, v7 offset:20992                           // 0000000197C8: D86C5200 40000007
	ds_read_b32 v65, v7 offset:21056                           // 0000000197D0: D86C5240 41000007
	ds_read_b32 v66, v7 offset:21120                           // 0000000197D8: D86C5280 42000007
	ds_read_b32 v67, v7 offset:21184                           // 0000000197E0: D86C52C0 43000007
	ds_read_b32 v68, v7 offset:21248                           // 0000000197E8: D86C5300 44000007
	ds_read_b32 v69, v7 offset:21312                           // 0000000197F0: D86C5340 45000007
	ds_read_b32 v70, v7 offset:21376                           // 0000000197F8: D86C5380 46000007
	ds_read_b32 v71, v7 offset:21440                           // 000000019800: D86C53C0 47000007
	ds_read_b32 v72, v7 offset:21504                           // 000000019808: D86C5400 48000007
	ds_read_b32 v73, v7 offset:21568                           // 000000019810: D86C5440 49000007
	ds_read_b32 v74, v7 offset:21632                           // 000000019818: D86C5480 4A000007
	ds_read_b32 v75, v7 offset:21696                           // 000000019820: D86C54C0 4B000007
	ds_read_b32 v76, v7 offset:21760                           // 000000019828: D86C5500 4C000007
	ds_read_b32 v77, v7 offset:21824                           // 000000019830: D86C5540 4D000007
	ds_read_b32 v78, v7 offset:21888                           // 000000019838: D86C5580 4E000007
	ds_read_b32 v79, v7 offset:21952                           // 000000019840: D86C55C0 4F000007
	v_mul_f32_e32 v40, v51, v40                                // 000000019848: 0A505133
	v_mov_b32_e32 v15, v144                                    // 00000001984C: 7E1E0390
	v_add_f32_e32 v15, v145, v15                               // 000000019850: 021E1F91
	v_add_f32_e32 v15, v146, v15                               // 000000019854: 021E1F92
	v_add_f32_e32 v15, v147, v15                               // 000000019858: 021E1F93
	v_add_f32_e32 v15, v148, v15                               // 00000001985C: 021E1F94
	v_add_f32_e32 v15, v149, v15                               // 000000019860: 021E1F95
	v_add_f32_e32 v15, v150, v15                               // 000000019864: 021E1F96
	v_add_f32_e32 v15, v151, v15                               // 000000019868: 021E1F97
	v_add_f32_e32 v15, v152, v15                               // 00000001986C: 021E1F98
	v_add_f32_e32 v15, v153, v15                               // 000000019870: 021E1F99
	v_add_f32_e32 v15, v154, v15                               // 000000019874: 021E1F9A
	v_add_f32_e32 v15, v155, v15                               // 000000019878: 021E1F9B
	v_add_f32_e32 v15, v156, v15                               // 00000001987C: 021E1F9C
	v_add_f32_e32 v15, v157, v15                               // 000000019880: 021E1F9D
	v_add_f32_e32 v15, v158, v15                               // 000000019884: 021E1F9E
	v_add_f32_e32 v15, v159, v15                               // 000000019888: 021E1F9F
	v_add_f32_e32 v40, v15, v40                                // 00000001988C: 0250510F
	s_waitcnt lgkmcnt(0)                                       // 000000019890: BF8CC07F
	v_max3_f32 v48, |v64|, |v65|, v48                          // 000000019894: D1D30330 04C28340
	v_max3_f32 v48, |v66|, |v67|, v48                          // 00000001989C: D1D30330 04C28742
	v_max3_f32 v48, |v68|, |v69|, v48                          // 0000000198A4: D1D30330 04C28B44
	v_max3_f32 v48, |v70|, |v71|, v48                          // 0000000198AC: D1D30330 04C28F46
	v_max3_f32 v48, |v72|, |v73|, v48                          // 0000000198B4: D1D30330 04C29348
	v_max3_f32 v48, |v74|, |v75|, v48                          // 0000000198BC: D1D30330 04C2974A
	v_max3_f32 v48, |v76|, |v77|, v48                          // 0000000198C4: D1D30330 04C29B4C
	v_max3_f32 v48, |v78|, |v79|, v48                          // 0000000198CC: D1D30330 04C29F4E
	s_nop 2                                                    // 0000000198D4: BF800002
	v_rcp_f32_e32 v48, v48                                     // 0000000198D8: 7E604530
	s_nop 1                                                    // 0000000198DC: BF800001
	v_mul_f32_e32 v48, 0x42fe0000, v48                         // 0000000198E0: 0A6060FF 42FE0000
	v_mul_f32_e32 v144, v48, v240                              // 0000000198E8: 0B21E130
	v_mul_f32_e32 v145, v48, v241                              // 0000000198EC: 0B23E330
	v_mul_f32_e32 v146, v48, v242                              // 0000000198F0: 0B25E530
	v_mul_f32_e32 v147, v48, v243                              // 0000000198F4: 0B27E730
	v_mul_f32_e32 v148, v48, v244                              // 0000000198F8: 0B29E930
	v_mul_f32_e32 v149, v48, v245                              // 0000000198FC: 0B2BEB30
	v_mul_f32_e32 v150, v48, v246                              // 000000019900: 0B2DED30
	v_mul_f32_e32 v151, v48, v247                              // 000000019904: 0B2FEF30
	v_mul_f32_e32 v152, v48, v248                              // 000000019908: 0B31F130
	v_mul_f32_e32 v153, v48, v249                              // 00000001990C: 0B33F330
	v_mul_f32_e32 v154, v48, v250                              // 000000019910: 0B35F530
	v_mul_f32_e32 v155, v48, v251                              // 000000019914: 0B37F730
	v_mul_f32_e32 v156, v48, v252                              // 000000019918: 0B39F930
	v_mul_f32_e32 v157, v48, v253                              // 00000001991C: 0B3BFB30
	v_mul_f32_e32 v158, v48, v254                              // 000000019920: 0B3DFD30
	v_mul_f32_e32 v159, v48, v255                              // 000000019924: 0B3FFF30
	v_cvt_i32_f32_e32 v144, v144                               // 000000019928: 7F201190
	v_cvt_i32_f32_e32 v145, v145                               // 00000001992C: 7F221191
	v_cvt_i32_f32_e32 v146, v146                               // 000000019930: 7F241192
	v_cvt_i32_f32_e32 v147, v147                               // 000000019934: 7F261193
	v_cvt_i32_f32_e32 v148, v148                               // 000000019938: 7F281194
	v_cvt_i32_f32_e32 v149, v149                               // 00000001993C: 7F2A1195
	v_cvt_i32_f32_e32 v150, v150                               // 000000019940: 7F2C1196
	v_cvt_i32_f32_e32 v151, v151                               // 000000019944: 7F2E1197
	v_cvt_i32_f32_e32 v152, v152                               // 000000019948: 7F301198
	v_cvt_i32_f32_e32 v153, v153                               // 00000001994C: 7F321199
	v_cvt_i32_f32_e32 v154, v154                               // 000000019950: 7F34119A
	v_cvt_i32_f32_e32 v155, v155                               // 000000019954: 7F36119B
	v_cvt_i32_f32_e32 v156, v156                               // 000000019958: 7F38119C
	v_cvt_i32_f32_e32 v157, v157                               // 00000001995C: 7F3A119D
	v_cvt_i32_f32_e32 v158, v158                               // 000000019960: 7F3C119E
	v_cvt_i32_f32_e32 v159, v159                               // 000000019964: 7F3E119F
	v_perm_b32 v144, v145, v144, s53                           // 000000019968: D1ED0090 00D72191
	v_perm_b32 v144, v146, v144, s54                           // 000000019970: D1ED0090 00DB2192
	v_perm_b32 v144, v147, v144, s55                           // 000000019978: D1ED0090 00DF2193
	v_perm_b32 v145, v149, v148, s53                           // 000000019980: D1ED0091 00D72995
	v_perm_b32 v145, v150, v145, s54                           // 000000019988: D1ED0091 00DB2396
	v_perm_b32 v145, v151, v145, s55                           // 000000019990: D1ED0091 00DF2397
	v_perm_b32 v146, v153, v152, s53                           // 000000019998: D1ED0092 00D73199
	v_perm_b32 v146, v154, v146, s54                           // 0000000199A0: D1ED0092 00DB259A
	v_perm_b32 v146, v155, v146, s55                           // 0000000199A8: D1ED0092 00DF259B
	v_perm_b32 v147, v157, v156, s53                           // 0000000199B0: D1ED0093 00D7399D
	v_perm_b32 v147, v158, v147, s54                           // 0000000199B8: D1ED0093 00DB279E
	v_perm_b32 v147, v159, v147, s55                           // 0000000199C0: D1ED0093 00DF279F
	ds_write_b32 v10, v144 offset:33280                        // 0000000199C8: D81A8200 0000900A
	ds_write_b32 v10, v145 offset:34304                        // 0000000199D0: D81A8600 0000910A
	ds_write_b32 v10, v146 offset:35328                        // 0000000199D8: D81A8A00 0000920A
	ds_write_b32 v10, v147 offset:36352                        // 0000000199E0: D81A8E00 0000930A
	v_add_f32_e32 v224, v224, v192                             // 0000000199E8: 03C181E0
	v_add_f32_e32 v225, v225, v193                             // 0000000199EC: 03C383E1
	v_add_f32_e32 v226, v226, v194                             // 0000000199F0: 03C585E2
	v_add_f32_e32 v227, v227, v195                             // 0000000199F4: 03C787E3
	v_add_f32_e32 v228, v228, v196                             // 0000000199F8: 03C989E4
	v_add_f32_e32 v229, v229, v197                             // 0000000199FC: 03CB8BE5
	v_add_f32_e32 v230, v230, v198                             // 000000019A00: 03CD8DE6
	v_add_f32_e32 v231, v231, v199                             // 000000019A04: 03CF8FE7
	v_rcp_f32_e32 v46, v48                                     // 000000019A08: 7E5C4530
	s_waitcnt lgkmcnt(0)                                       // 000000019A0C: BF8CC07F
	s_barrier                                                  // 000000019A10: BF8A0000
	ds_read_b64 v[144:145], v9 offset:33280                    // 000000019A14: D8EC8200 90000009
	ds_read_b64 v[146:147], v9 offset:33408                    // 000000019A1C: D8EC8280 92000009
	ds_read_b64 v[148:149], v9 offset:34304                    // 000000019A24: D8EC8600 94000009
	ds_read_b64 v[150:151], v9 offset:34432                    // 000000019A2C: D8EC8680 96000009
	ds_read_b64 v[152:153], v9 offset:35328                    // 000000019A34: D8EC8A00 98000009
	ds_read_b64 v[154:155], v9 offset:35456                    // 000000019A3C: D8EC8A80 9A000009
	ds_read_b64 v[156:157], v9 offset:36352                    // 000000019A44: D8EC8E00 9C000009
	ds_read_b64 v[158:159], v9 offset:36480                    // 000000019A4C: D8EC8E80 9E000009
	s_waitcnt vmcnt(15)                                        // 000000019A54: BF8C0F7F
	v_mfma_i32_16x16x32_i8 v[176:179], a[96:97], v[112:113], 0 // 000000019A58: D3D700B0 0A02E160
	buffer_load_dwordx4 a[80:83], v30, s[20:23], 0 offen offset:1024// 000000019A60: E05C1400 8085501E
	v_mfma_i32_16x16x32_i8 v[176:179], a[98:99], v[114:115], v[176:179]// 000000019A68: D3D700B0 0EC2E562
	v_mfma_i32_16x16x32_i8 v[176:179], a[100:101], v[116:117], v[176:179]// 000000019A70: D3D700B0 0EC2E964
	v_mfma_i32_16x16x32_i8 v[176:179], a[102:103], v[118:119], v[176:179]// 000000019A78: D3D700B0 0EC2ED66
	v_mfma_i32_16x16x32_i8 v[176:179], a[104:105], v[120:121], v[176:179]// 000000019A80: D3D700B0 0EC2F168
	buffer_load_dwordx4 a[84:87], v31, s[20:23], 0 offen offset:1024// 000000019A88: E05C1400 8085541F
	v_mfma_i32_16x16x32_i8 v[176:179], a[106:107], v[122:123], v[176:179]// 000000019A90: D3D700B0 0EC2F56A
	v_mfma_i32_16x16x32_i8 v[176:179], a[108:109], v[124:125], v[176:179]// 000000019A98: D3D700B0 0EC2F96C
	v_mfma_i32_16x16x32_i8 v[176:179], a[110:111], v[126:127], v[176:179]// 000000019AA0: D3D700B0 0EC2FD6E
	v_mfma_i32_16x16x32_i8 v[180:183], a[112:113], v[112:113], 0// 000000019AA8: D3D700B4 0A02E170
	buffer_load_dwordx4 a[88:91], v32, s[20:23], 0 offen offset:1024// 000000019AB0: E05C1400 80855820
	v_mfma_i32_16x16x32_i8 v[180:183], a[114:115], v[114:115], v[180:183]// 000000019AB8: D3D700B4 0ED2E572
	v_mfma_i32_16x16x32_i8 v[180:183], a[116:117], v[116:117], v[180:183]// 000000019AC0: D3D700B4 0ED2E974
	v_mfma_i32_16x16x32_i8 v[180:183], a[118:119], v[118:119], v[180:183]// 000000019AC8: D3D700B4 0ED2ED76
	v_mfma_i32_16x16x32_i8 v[180:183], a[120:121], v[120:121], v[180:183]// 000000019AD0: D3D700B4 0ED2F178
	buffer_load_dwordx4 a[92:95], v33, s[20:23], 0 offen offset:1024// 000000019AD8: E05C1400 80855C21
	v_mfma_i32_16x16x32_i8 v[180:183], a[122:123], v[122:123], v[180:183]// 000000019AE0: D3D700B4 0ED2F57A
	v_mfma_i32_16x16x32_i8 v[180:183], a[124:125], v[124:125], v[180:183]// 000000019AE8: D3D700B4 0ED2F97C
	s_lshr_b32 s57, s70, 4                                     // 000000019AF0: 8F398446
	s_add_u32 s57, 48, s57                                     // 000000019AF4: 803939B0
	v_mfma_i32_16x16x32_i8 v[180:183], a[126:127], v[126:127], v[180:183]// 000000019AF8: D3D700B4 0ED2FD7E
	s_cmp_ge_u32 s57, s73                                      // 000000019B00: BF094939
	s_cselect_b32 s56, 0, s56                                  // 000000019B04: 85383880
	v_mfma_i32_16x16x32_i8 v[184:187], a[96:97], v[128:129], 0 // 000000019B08: D3D700B8 0A030160
	v_mfma_i32_16x16x32_i8 v[184:187], a[98:99], v[130:131], v[184:187]// 000000019B10: D3D700B8 0EE30562
	v_mfma_i32_16x16x32_i8 v[184:187], a[100:101], v[132:133], v[184:187]// 000000019B18: D3D700B8 0EE30964
	v_mfma_i32_16x16x32_i8 v[184:187], a[102:103], v[134:135], v[184:187]// 000000019B20: D3D700B8 0EE30D66
	v_mfma_i32_16x16x32_i8 v[184:187], a[104:105], v[136:137], v[184:187]// 000000019B28: D3D700B8 0EE31168
	v_mfma_i32_16x16x32_i8 v[184:187], a[106:107], v[138:139], v[184:187]// 000000019B30: D3D700B8 0EE3156A
	v_mfma_i32_16x16x32_i8 v[184:187], a[108:109], v[140:141], v[184:187]// 000000019B38: D3D700B8 0EE3196C
	v_mfma_i32_16x16x32_i8 v[184:187], a[110:111], v[142:143], v[184:187]// 000000019B40: D3D700B8 0EE31D6E
	v_mfma_i32_16x16x32_i8 v[188:191], a[112:113], v[128:129], 0// 000000019B48: D3D700BC 0A030170
	v_mfma_i32_16x16x32_i8 v[188:191], a[114:115], v[130:131], v[188:191]// 000000019B50: D3D700BC 0EF30572
	v_mfma_i32_16x16x32_i8 v[188:191], a[116:117], v[132:133], v[188:191]// 000000019B58: D3D700BC 0EF30974
	v_mfma_i32_16x16x32_i8 v[188:191], a[118:119], v[134:135], v[188:191]// 000000019B60: D3D700BC 0EF30D76
	v_mfma_i32_16x16x32_i8 v[188:191], a[120:121], v[136:137], v[188:191]// 000000019B68: D3D700BC 0EF31178
	v_mfma_i32_16x16x32_i8 v[188:191], a[122:123], v[138:139], v[188:191]// 000000019B70: D3D700BC 0EF3157A
	v_mfma_i32_16x16x32_i8 v[188:191], a[124:125], v[140:141], v[188:191]// 000000019B78: D3D700BC 0EF3197C
	v_mfma_i32_16x16x32_i8 v[188:191], a[126:127], v[142:143], v[188:191]// 000000019B80: D3D700BC 0EF31D7E
	v_mfma_i32_16x16x32_i8 v[192:195], a[96:97], v[144:145], 0 // 000000019B88: D3D700C0 0A032160
	v_mfma_i32_16x16x32_i8 v[192:195], a[98:99], v[146:147], v[192:195]// 000000019B90: D3D700C0 0F032562
	v_mfma_i32_16x16x32_i8 v[192:195], a[100:101], v[148:149], v[192:195]// 000000019B98: D3D700C0 0F032964
	v_mfma_i32_16x16x32_i8 v[192:195], a[102:103], v[150:151], v[192:195]// 000000019BA0: D3D700C0 0F032D66
	v_mfma_i32_16x16x32_i8 v[192:195], a[104:105], v[152:153], v[192:195]// 000000019BA8: D3D700C0 0F033168
	v_mfma_i32_16x16x32_i8 v[192:195], a[106:107], v[154:155], v[192:195]// 000000019BB0: D3D700C0 0F03356A
	v_mfma_i32_16x16x32_i8 v[192:195], a[108:109], v[156:157], v[192:195]// 000000019BB8: D3D700C0 0F03396C
	v_mfma_i32_16x16x32_i8 v[192:195], a[110:111], v[158:159], v[192:195]// 000000019BC0: D3D700C0 0F033D6E
	v_mfma_i32_16x16x32_i8 v[196:199], a[112:113], v[144:145], 0// 000000019BC8: D3D700C4 0A032170
	v_mfma_i32_16x16x32_i8 v[196:199], a[114:115], v[146:147], v[196:199]// 000000019BD0: D3D700C4 0F132572
	v_mfma_i32_16x16x32_i8 v[196:199], a[116:117], v[148:149], v[196:199]// 000000019BD8: D3D700C4 0F132974
	v_mfma_i32_16x16x32_i8 v[196:199], a[118:119], v[150:151], v[196:199]// 000000019BE0: D3D700C4 0F132D76
	v_mfma_i32_16x16x32_i8 v[196:199], a[120:121], v[152:153], v[196:199]// 000000019BE8: D3D700C4 0F133178
	v_mfma_i32_16x16x32_i8 v[196:199], a[122:123], v[154:155], v[196:199]// 000000019BF0: D3D700C4 0F13357A
	v_mfma_i32_16x16x32_i8 v[196:199], a[124:125], v[156:157], v[196:199]// 000000019BF8: D3D700C4 0F13397C
	v_mfma_i32_16x16x32_i8 v[196:199], a[126:127], v[158:159], v[196:199]// 000000019C00: D3D700C4 0F133D7E
	v_add_u32_e32 v1, s56, v1                                  // 000000019C08: 68020238
	s_addk_i32 s70, 0x100                                      // 000000019C0C: B7460100
	s_cmp_lt_i32 s70, s71                                      // 000000019C10: BF044746
	s_cbranch_scc0 label_4E43                                  // 000000019C14: BF84EFBD
	s_branch label_4E46                                        // 000000019C18: BF82EFBF

0000000000019c1c <label_5E87>:
	s_lshr_b32 s60, s71, 4                                     // 000000019C1C: 8F3C8447
	s_cmp_eq_i32 s60, s73                                      // 000000019C20: BF00493C
	s_cbranch_scc1 label_70DE                                  // 000000019C24: BF851254
	s_lshr_b32 s60, s71, 8                                     // 000000019C28: 8F3C8847
	s_and_b32 s60, s60, 1                                      // 000000019C2C: 863C813C
	s_cmp_eq_i32 s60, 1                                        // 000000019C30: BF00813C
	s_cbranch_scc1 label_67B6                                  // 000000019C34: BF850928
	s_waitcnt vmcnt(8) lgkmcnt(0)                              // 000000019C38: BF8C0078
	s_barrier                                                  // 000000019C3C: BF8A0000
	v_mfma_i32_16x16x32_i8 v[112:115], a[0:1], v[80:81], 0     // 000000019C40: D3D70070 0A02A100
	v_mfma_i32_16x16x32_i8 v[112:115], a[2:3], v[82:83], v[112:115]// 000000019C48: D3D70070 0DC2A502
	v_mfma_i32_16x16x32_i8 v[112:115], a[4:5], v[84:85], v[112:115]// 000000019C50: D3D70070 0DC2A904
	v_mfma_i32_16x16x32_i8 v[112:115], a[6:7], v[86:87], v[112:115]// 000000019C58: D3D70070 0DC2AD06
	v_mfma_i32_16x16x32_i8 v[116:119], a[8:9], v[80:81], 0     // 000000019C60: D3D70074 0A02A108
	v_mfma_i32_16x16x32_i8 v[116:119], a[10:11], v[82:83], v[116:119]// 000000019C68: D3D70074 0DD2A50A
	v_mfma_i32_16x16x32_i8 v[116:119], a[12:13], v[84:85], v[116:119]// 000000019C70: D3D70074 0DD2A90C
	v_mfma_i32_16x16x32_i8 v[116:119], a[14:15], v[86:87], v[116:119]// 000000019C78: D3D70074 0DD2AD0E
	v_mfma_i32_16x16x32_i8 v[120:123], a[16:17], v[80:81], 0   // 000000019C80: D3D70078 0A02A110
	v_mfma_i32_16x16x32_i8 v[120:123], a[18:19], v[82:83], v[120:123]// 000000019C88: D3D70078 0DE2A512
	v_mfma_i32_16x16x32_i8 v[120:123], a[20:21], v[84:85], v[120:123]// 000000019C90: D3D70078 0DE2A914
	v_mfma_i32_16x16x32_i8 v[120:123], a[22:23], v[86:87], v[120:123]// 000000019C98: D3D70078 0DE2AD16
	v_mfma_i32_16x16x32_i8 v[124:127], a[24:25], v[80:81], 0   // 000000019CA0: D3D7007C 0A02A118
	v_mfma_i32_16x16x32_i8 v[124:127], a[26:27], v[82:83], v[124:127]// 000000019CA8: D3D7007C 0DF2A51A
	v_mfma_i32_16x16x32_i8 v[124:127], a[28:29], v[84:85], v[124:127]// 000000019CB0: D3D7007C 0DF2A91C
	v_mfma_i32_16x16x32_i8 v[124:127], a[30:31], v[86:87], v[124:127]// 000000019CB8: D3D7007C 0DF2AD1E
	v_mfma_i32_16x16x32_i8 v[128:131], a[0:1], v[88:89], 0     // 000000019CC0: D3D70080 0A02B100
	v_mfma_i32_16x16x32_i8 v[128:131], a[2:3], v[90:91], v[128:131]// 000000019CC8: D3D70080 0E02B502
	v_mfma_i32_16x16x32_i8 v[128:131], a[4:5], v[92:93], v[128:131]// 000000019CD0: D3D70080 0E02B904
	v_mfma_i32_16x16x32_i8 v[128:131], a[6:7], v[94:95], v[128:131]// 000000019CD8: D3D70080 0E02BD06
	v_mfma_i32_16x16x32_i8 v[132:135], a[8:9], v[88:89], 0     // 000000019CE0: D3D70084 0A02B108
	v_mfma_i32_16x16x32_i8 v[132:135], a[10:11], v[90:91], v[132:135]// 000000019CE8: D3D70084 0E12B50A
	v_mfma_i32_16x16x32_i8 v[132:135], a[12:13], v[92:93], v[132:135]// 000000019CF0: D3D70084 0E12B90C
	v_mfma_i32_16x16x32_i8 v[132:135], a[14:15], v[94:95], v[132:135]// 000000019CF8: D3D70084 0E12BD0E
	v_mfma_i32_16x16x32_i8 v[136:139], a[16:17], v[88:89], 0   // 000000019D00: D3D70088 0A02B110
	v_mfma_i32_16x16x32_i8 v[136:139], a[18:19], v[90:91], v[136:139]// 000000019D08: D3D70088 0E22B512
	v_mfma_i32_16x16x32_i8 v[136:139], a[20:21], v[92:93], v[136:139]// 000000019D10: D3D70088 0E22B914
	v_mfma_i32_16x16x32_i8 v[136:139], a[22:23], v[94:95], v[136:139]// 000000019D18: D3D70088 0E22BD16
	v_mfma_i32_16x16x32_i8 v[140:143], a[24:25], v[88:89], 0   // 000000019D20: D3D7008C 0A02B118
	v_mfma_i32_16x16x32_i8 v[140:143], a[26:27], v[90:91], v[140:143]// 000000019D28: D3D7008C 0E32B51A
	v_mfma_i32_16x16x32_i8 v[140:143], a[28:29], v[92:93], v[140:143]// 000000019D30: D3D7008C 0E32B91C
	v_mfma_i32_16x16x32_i8 v[140:143], a[30:31], v[94:95], v[140:143]// 000000019D38: D3D7008C 0E32BD1E
	v_mfma_i32_16x16x32_i8 v[144:147], a[0:1], v[96:97], 0     // 000000019D40: D3D70090 0A02C100
	v_mfma_i32_16x16x32_i8 v[144:147], a[2:3], v[98:99], v[144:147]// 000000019D48: D3D70090 0E42C502
	v_mfma_i32_16x16x32_i8 v[144:147], a[4:5], v[100:101], v[144:147]// 000000019D50: D3D70090 0E42C904
	v_mfma_i32_16x16x32_i8 v[144:147], a[6:7], v[102:103], v[144:147]// 000000019D58: D3D70090 0E42CD06
	v_mfma_i32_16x16x32_i8 v[148:151], a[8:9], v[96:97], 0     // 000000019D60: D3D70094 0A02C108
	v_mfma_i32_16x16x32_i8 v[148:151], a[10:11], v[98:99], v[148:151]// 000000019D68: D3D70094 0E52C50A
	v_mfma_i32_16x16x32_i8 v[148:151], a[12:13], v[100:101], v[148:151]// 000000019D70: D3D70094 0E52C90C
	v_mfma_i32_16x16x32_i8 v[148:151], a[14:15], v[102:103], v[148:151]// 000000019D78: D3D70094 0E52CD0E
	v_mfma_i32_16x16x32_i8 v[152:155], a[16:17], v[96:97], 0   // 000000019D80: D3D70098 0A02C110
	v_mfma_i32_16x16x32_i8 v[152:155], a[18:19], v[98:99], v[152:155]// 000000019D88: D3D70098 0E62C512
	v_mfma_i32_16x16x32_i8 v[152:155], a[20:21], v[100:101], v[152:155]// 000000019D90: D3D70098 0E62C914
	v_mfma_i32_16x16x32_i8 v[152:155], a[22:23], v[102:103], v[152:155]// 000000019D98: D3D70098 0E62CD16
	v_mfma_i32_16x16x32_i8 v[156:159], a[24:25], v[96:97], 0   // 000000019DA0: D3D7009C 0A02C118
	v_mfma_i32_16x16x32_i8 v[156:159], a[26:27], v[98:99], v[156:159]// 000000019DA8: D3D7009C 0E72C51A
	v_mfma_i32_16x16x32_i8 v[156:159], a[28:29], v[100:101], v[156:159]// 000000019DB0: D3D7009C 0E72C91C
	v_mfma_i32_16x16x32_i8 v[156:159], a[30:31], v[102:103], v[156:159]// 000000019DB8: D3D7009C 0E72CD1E
	v_mov_b32_dpp v64, v42 row_shr:4 row_mask:0xf bank_mask:0xf// 000000019DC0: 7E8002FA FF01142A
	v_mov_b32_dpp v65, v42 row_shl:4 row_mask:0xf bank_mask:0xf// 000000019DC8: 7E8202FA FF01042A
	v_cndmask_b32_e64 v248, v42, v64, s[44:45]                 // 000000019DD0: D10000F8 00B2812A
	v_cndmask_b32_e64 v249, v65, v42, s[44:45]                 // 000000019DD8: D10000F9 00B25541
	v_mov_b32_dpp v64, v248 row_shr:8 row_mask:0xf bank_mask:0xf// 000000019DE0: 7E8002FA FF0118F8
	v_mov_b32_dpp v65, v248 row_shl:8 row_mask:0xf bank_mask:0xf// 000000019DE8: 7E8202FA FF0108F8
	v_mov_b32_dpp v66, v249 row_shr:8 row_mask:0xf bank_mask:0xf// 000000019DF0: 7E8402FA FF0118F9
	v_mov_b32_dpp v67, v249 row_shl:8 row_mask:0xf bank_mask:0xf// 000000019DF8: 7E8602FA FF0108F9
	v_mov_b32_e32 v68, v248                                    // 000000019E00: 7E8803F8
	v_mov_b32_e32 v69, v249                                    // 000000019E04: 7E8A03F9
	v_cndmask_b32_e64 v248, v68, v64, s[42:43]                 // 000000019E08: D10000F8 00AA8144
	v_cndmask_b32_e64 v250, v68, v65, s[78:79]                 // 000000019E10: D10000FA 013A8344
	v_cndmask_b32_e64 v249, v69, v66, s[42:43]                 // 000000019E18: D10000F9 00AA8545
	v_cndmask_b32_e64 v251, v69, v67, s[78:79]                 // 000000019E20: D10000FB 013A8745
	v_mov_b32_dpp v64, v57 row_shr:4 row_mask:0xf bank_mask:0xf// 000000019E28: 7E8002FA FF011439
	v_mov_b32_dpp v65, v57 row_shl:4 row_mask:0xf bank_mask:0xf// 000000019E30: 7E8202FA FF010439
	v_cndmask_b32_e64 v252, v57, v64, s[44:45]                 // 000000019E38: D10000FC 00B28139
	v_cndmask_b32_e64 v253, v65, v57, s[44:45]                 // 000000019E40: D10000FD 00B27341
	v_mov_b32_dpp v64, v252 row_shr:8 row_mask:0xf bank_mask:0xf// 000000019E48: 7E8002FA FF0118FC
	v_mov_b32_dpp v65, v252 row_shl:8 row_mask:0xf bank_mask:0xf// 000000019E50: 7E8202FA FF0108FC
	v_mov_b32_dpp v66, v253 row_shr:8 row_mask:0xf bank_mask:0xf// 000000019E58: 7E8402FA FF0118FD
	v_mov_b32_dpp v67, v253 row_shl:8 row_mask:0xf bank_mask:0xf// 000000019E60: 7E8602FA FF0108FD
	v_mov_b32_e32 v68, v252                                    // 000000019E68: 7E8803FC
	v_mov_b32_e32 v69, v253                                    // 000000019E6C: 7E8A03FD
	v_cndmask_b32_e64 v252, v68, v64, s[42:43]                 // 000000019E70: D10000FC 00AA8144
	v_cndmask_b32_e64 v254, v68, v65, s[78:79]                 // 000000019E78: D10000FE 013A8344
	v_cndmask_b32_e64 v253, v69, v66, s[42:43]                 // 000000019E80: D10000FD 00AA8545
	v_cndmask_b32_e64 v255, v69, v67, s[78:79]                 // 000000019E88: D10000FF 013A8745
	v_cvt_f32_i32_e32 v112, v112                               // 000000019E90: 7EE00B70
	v_cvt_f32_i32_e32 v113, v113                               // 000000019E94: 7EE20B71
	v_cvt_f32_i32_e32 v114, v114                               // 000000019E98: 7EE40B72
	v_cvt_f32_i32_e32 v115, v115                               // 000000019E9C: 7EE60B73
	v_cvt_f32_i32_e32 v116, v116                               // 000000019EA0: 7EE80B74
	v_cvt_f32_i32_e32 v117, v117                               // 000000019EA4: 7EEA0B75
	v_cvt_f32_i32_e32 v118, v118                               // 000000019EA8: 7EEC0B76
	v_cvt_f32_i32_e32 v119, v119                               // 000000019EAC: 7EEE0B77
	v_cvt_f32_i32_e32 v120, v120                               // 000000019EB0: 7EF00B78
	v_cvt_f32_i32_e32 v121, v121                               // 000000019EB4: 7EF20B79
	v_cvt_f32_i32_e32 v122, v122                               // 000000019EB8: 7EF40B7A
	v_cvt_f32_i32_e32 v123, v123                               // 000000019EBC: 7EF60B7B
	v_cvt_f32_i32_e32 v124, v124                               // 000000019EC0: 7EF80B7C
	v_cvt_f32_i32_e32 v125, v125                               // 000000019EC4: 7EFA0B7D
	v_cvt_f32_i32_e32 v126, v126                               // 000000019EC8: 7EFC0B7E
	v_cvt_f32_i32_e32 v127, v127                               // 000000019ECC: 7EFE0B7F
	v_mul_f32_e32 v112, v18, v112                              // 000000019ED0: 0AE0E112
	v_mul_f32_e32 v113, v18, v113                              // 000000019ED4: 0AE2E312
	v_mul_f32_e32 v114, v18, v114                              // 000000019ED8: 0AE4E512
	v_mul_f32_e32 v115, v18, v115                              // 000000019EDC: 0AE6E712
	v_mul_f32_e32 v116, v18, v116                              // 000000019EE0: 0AE8E912
	v_mul_f32_e32 v117, v18, v117                              // 000000019EE4: 0AEAEB12
	v_mul_f32_e32 v118, v18, v118                              // 000000019EE8: 0AECED12
	v_mul_f32_e32 v119, v18, v119                              // 000000019EEC: 0AEEEF12
	v_mul_f32_e32 v120, v18, v120                              // 000000019EF0: 0AF0F112
	v_mul_f32_e32 v121, v18, v121                              // 000000019EF4: 0AF2F312
	v_mul_f32_e32 v122, v18, v122                              // 000000019EF8: 0AF4F512
	v_mul_f32_e32 v123, v18, v123                              // 000000019EFC: 0AF6F712
	v_mul_f32_e32 v124, v18, v124                              // 000000019F00: 0AF8F912
	v_mul_f32_e32 v125, v18, v125                              // 000000019F04: 0AFAFB12
	v_mul_f32_e32 v126, v18, v126                              // 000000019F08: 0AFCFD12
	v_mul_f32_e32 v127, v18, v127                              // 000000019F0C: 0AFEFF12
	v_mul_f32_dpp v112, v248, v112 quad_perm:[0,0,0,0] row_mask:0xf bank_mask:0xf// 000000019F10: 0AE0E0FA FF0000F8
	v_mul_f32_dpp v113, v248, v113 quad_perm:[1,1,1,1] row_mask:0xf bank_mask:0xf// 000000019F18: 0AE2E2FA FF0055F8
	v_mul_f32_dpp v114, v248, v114 quad_perm:[2,2,2,2] row_mask:0xf bank_mask:0xf// 000000019F20: 0AE4E4FA FF00AAF8
	v_mul_f32_dpp v115, v248, v115 quad_perm:[3,3,3,3] row_mask:0xf bank_mask:0xf// 000000019F28: 0AE6E6FA FF00FFF8
	v_mul_f32_dpp v116, v249, v116 quad_perm:[0,0,0,0] row_mask:0xf bank_mask:0xf// 000000019F30: 0AE8E8FA FF0000F9
	v_mul_f32_dpp v117, v249, v117 quad_perm:[1,1,1,1] row_mask:0xf bank_mask:0xf// 000000019F38: 0AEAEAFA FF0055F9
	v_mul_f32_dpp v118, v249, v118 quad_perm:[2,2,2,2] row_mask:0xf bank_mask:0xf// 000000019F40: 0AECECFA FF00AAF9
	v_mul_f32_dpp v119, v249, v119 quad_perm:[3,3,3,3] row_mask:0xf bank_mask:0xf// 000000019F48: 0AEEEEFA FF00FFF9
	v_mul_f32_dpp v120, v250, v120 quad_perm:[0,0,0,0] row_mask:0xf bank_mask:0xf// 000000019F50: 0AF0F0FA FF0000FA
	v_mul_f32_dpp v121, v250, v121 quad_perm:[1,1,1,1] row_mask:0xf bank_mask:0xf// 000000019F58: 0AF2F2FA FF0055FA
	v_mul_f32_dpp v122, v250, v122 quad_perm:[2,2,2,2] row_mask:0xf bank_mask:0xf// 000000019F60: 0AF4F4FA FF00AAFA
	v_mul_f32_dpp v123, v250, v123 quad_perm:[3,3,3,3] row_mask:0xf bank_mask:0xf// 000000019F68: 0AF6F6FA FF00FFFA
	v_mul_f32_dpp v124, v251, v124 quad_perm:[0,0,0,0] row_mask:0xf bank_mask:0xf// 000000019F70: 0AF8F8FA FF0000FB
	v_mul_f32_dpp v125, v251, v125 quad_perm:[1,1,1,1] row_mask:0xf bank_mask:0xf// 000000019F78: 0AFAFAFA FF0055FB
	v_mul_f32_dpp v126, v251, v126 quad_perm:[2,2,2,2] row_mask:0xf bank_mask:0xf// 000000019F80: 0AFCFCFA FF00AAFB
	v_mul_f32_dpp v127, v251, v127 quad_perm:[3,3,3,3] row_mask:0xf bank_mask:0xf// 000000019F88: 0AFEFEFA FF00FFFB
	s_cmp_le_i32 s90, s89                                      // 000000019F90: BF05595A
	s_cbranch_scc1 label_5FD7                                  // 000000019F94: BF850071
	v_mov_b32_e32 v66, 0xff800000                              // 000000019F98: 7E8402FF FF800000
	s_mov_b32 s60, s90                                         // 000000019FA0: BEBC005A
	s_add_u32 s61, s89, 0xff                                   // 000000019FA4: 803DFF59 000000FF
	v_mov_b32_e32 v64, s61                                     // 000000019FAC: 7E80023D
	v_lshrrev_b32_e32 v240, 4, v0                              // 000000019FB0: 21E00084
	v_mul_i32_i24_e32 v240, 4, v240                            // 000000019FB4: 0DE1E084
	v_add_u32_e32 v240, s60, v240                              // 000000019FB8: 69E1E03C
	s_mov_b32 s61, 0                                           // 000000019FBC: BEBD0080
	s_mul_i32 s60, 16, s7                                      // 000000019FC0: 923C0790
	v_sub_u32_e64 v240, v240, s61                              // 000000019FC4: D13500F0 00007BF0
	v_add_u32_e32 v240, s60, v240                              // 000000019FCC: 69E1E03C
	v_add_u32_e32 v241, 1, v240                                // 000000019FD0: 69E3E081
	v_add_u32_e32 v242, 2, v240                                // 000000019FD4: 69E5E082
	v_add_u32_e32 v243, 3, v240                                // 000000019FD8: 69E7E083
	v_cmp_le_u32_e64 s[40:41], v240, v64                       // 000000019FDC: D0CB0028 000281F0
	v_add_u32_e32 v240, 64, v240                               // 000000019FE4: 69E1E0C0
	s_nop 0                                                    // 000000019FE8: BF800000
	v_cndmask_b32_e64 v112, v66, v112, s[40:41]                // 000000019FEC: D1000070 00A2E142
	v_cmp_le_u32_e64 s[40:41], v241, v64                       // 000000019FF4: D0CB0028 000281F1
	v_add_u32_e32 v241, 64, v241                               // 000000019FFC: 69E3E2C0
	s_nop 0                                                    // 00000001A000: BF800000
	v_cndmask_b32_e64 v113, v66, v113, s[40:41]                // 00000001A004: D1000071 00A2E342
	v_cmp_le_u32_e64 s[40:41], v242, v64                       // 00000001A00C: D0CB0028 000281F2
	v_add_u32_e32 v242, 64, v242                               // 00000001A014: 69E5E4C0
	s_nop 0                                                    // 00000001A018: BF800000
	v_cndmask_b32_e64 v114, v66, v114, s[40:41]                // 00000001A01C: D1000072 00A2E542
	v_cmp_le_u32_e64 s[40:41], v243, v64                       // 00000001A024: D0CB0028 000281F3
	v_add_u32_e32 v243, 64, v243                               // 00000001A02C: 69E7E6C0
	s_nop 0                                                    // 00000001A030: BF800000
	v_cndmask_b32_e64 v115, v66, v115, s[40:41]                // 00000001A034: D1000073 00A2E742
	v_cmp_le_u32_e64 s[40:41], v240, v64                       // 00000001A03C: D0CB0028 000281F0
	v_add_u32_e32 v240, 64, v240                               // 00000001A044: 69E1E0C0
	s_nop 0                                                    // 00000001A048: BF800000
	v_cndmask_b32_e64 v116, v66, v116, s[40:41]                // 00000001A04C: D1000074 00A2E942
	v_cmp_le_u32_e64 s[40:41], v241, v64                       // 00000001A054: D0CB0028 000281F1
	v_add_u32_e32 v241, 64, v241                               // 00000001A05C: 69E3E2C0
	s_nop 0                                                    // 00000001A060: BF800000
	v_cndmask_b32_e64 v117, v66, v117, s[40:41]                // 00000001A064: D1000075 00A2EB42
	v_cmp_le_u32_e64 s[40:41], v242, v64                       // 00000001A06C: D0CB0028 000281F2
	v_add_u32_e32 v242, 64, v242                               // 00000001A074: 69E5E4C0
	s_nop 0                                                    // 00000001A078: BF800000
	v_cndmask_b32_e64 v118, v66, v118, s[40:41]                // 00000001A07C: D1000076 00A2ED42
	v_cmp_le_u32_e64 s[40:41], v243, v64                       // 00000001A084: D0CB0028 000281F3
	v_add_u32_e32 v243, 64, v243                               // 00000001A08C: 69E7E6C0
	s_nop 0                                                    // 00000001A090: BF800000
	v_cndmask_b32_e64 v119, v66, v119, s[40:41]                // 00000001A094: D1000077 00A2EF42
	v_cmp_le_u32_e64 s[40:41], v240, v64                       // 00000001A09C: D0CB0028 000281F0
	v_add_u32_e32 v240, 64, v240                               // 00000001A0A4: 69E1E0C0
	s_nop 0                                                    // 00000001A0A8: BF800000
	v_cndmask_b32_e64 v120, v66, v120, s[40:41]                // 00000001A0AC: D1000078 00A2F142
	v_cmp_le_u32_e64 s[40:41], v241, v64                       // 00000001A0B4: D0CB0028 000281F1
	v_add_u32_e32 v241, 64, v241                               // 00000001A0BC: 69E3E2C0
	s_nop 0                                                    // 00000001A0C0: BF800000
	v_cndmask_b32_e64 v121, v66, v121, s[40:41]                // 00000001A0C4: D1000079 00A2F342
	v_cmp_le_u32_e64 s[40:41], v242, v64                       // 00000001A0CC: D0CB0028 000281F2
	v_add_u32_e32 v242, 64, v242                               // 00000001A0D4: 69E5E4C0
	s_nop 0                                                    // 00000001A0D8: BF800000
	v_cndmask_b32_e64 v122, v66, v122, s[40:41]                // 00000001A0DC: D100007A 00A2F542
	v_cmp_le_u32_e64 s[40:41], v243, v64                       // 00000001A0E4: D0CB0028 000281F3
	v_add_u32_e32 v243, 64, v243                               // 00000001A0EC: 69E7E6C0
	s_nop 0                                                    // 00000001A0F0: BF800000
	v_cndmask_b32_e64 v123, v66, v123, s[40:41]                // 00000001A0F4: D100007B 00A2F742
	v_cmp_le_u32_e64 s[40:41], v240, v64                       // 00000001A0FC: D0CB0028 000281F0
	v_add_u32_e32 v240, 64, v240                               // 00000001A104: 69E1E0C0
	s_nop 0                                                    // 00000001A108: BF800000
	v_cndmask_b32_e64 v124, v66, v124, s[40:41]                // 00000001A10C: D100007C 00A2F942
	v_cmp_le_u32_e64 s[40:41], v241, v64                       // 00000001A114: D0CB0028 000281F1
	v_add_u32_e32 v241, 64, v241                               // 00000001A11C: 69E3E2C0
	s_nop 0                                                    // 00000001A120: BF800000
	v_cndmask_b32_e64 v125, v66, v125, s[40:41]                // 00000001A124: D100007D 00A2FB42
	v_cmp_le_u32_e64 s[40:41], v242, v64                       // 00000001A12C: D0CB0028 000281F2
	v_add_u32_e32 v242, 64, v242                               // 00000001A134: 69E5E4C0
	s_nop 0                                                    // 00000001A138: BF800000
	v_cndmask_b32_e64 v126, v66, v126, s[40:41]                // 00000001A13C: D100007E 00A2FD42
	v_cmp_le_u32_e64 s[40:41], v243, v64                       // 00000001A144: D0CB0028 000281F3
	v_add_u32_e32 v243, 64, v243                               // 00000001A14C: 69E7E6C0
	s_nop 0                                                    // 00000001A150: BF800000
	v_cndmask_b32_e64 v127, v66, v127, s[40:41]                // 00000001A154: D100007F 00A2FF42

000000000001a15c <label_5FD7>:
	s_and_b32 s60, s72, 0xff                                   // 00000001A15C: 863CFF48 000000FF
	v_mov_b32_e32 v65, s60                                     // 00000001A164: 7E82023C
	v_lshrrev_b32_e32 v240, 4, v0                              // 00000001A168: 21E00084
	v_mul_i32_i24_e32 v240, 4, v240                            // 00000001A16C: 0DE1E084
	s_mul_i32 s60, s7, 16                                      // 00000001A170: 923C9007
	v_add_u32_e32 v240, s60, v240                              // 00000001A174: 69E1E03C
	v_add_u32_e32 v241, 1, v240                                // 00000001A178: 69E3E081
	v_add_u32_e32 v242, 2, v240                                // 00000001A17C: 69E5E082
	v_add_u32_e32 v243, 3, v240                                // 00000001A180: 69E7E083
	v_mov_b32_e32 v64, 0xff800000                              // 00000001A184: 7E8002FF FF800000
	v_cmp_lt_u32_e64 s[40:41], v240, v65                       // 00000001A18C: D0C90028 000283F0
	v_add_u32_e32 v240, 64, v240                               // 00000001A194: 69E1E0C0
	s_nop 0                                                    // 00000001A198: BF800000
	v_cndmask_b32_e64 v112, v64, v112, s[40:41]                // 00000001A19C: D1000070 00A2E140
	v_cmp_lt_u32_e64 s[40:41], v241, v65                       // 00000001A1A4: D0C90028 000283F1
	v_add_u32_e32 v241, 64, v241                               // 00000001A1AC: 69E3E2C0
	s_nop 0                                                    // 00000001A1B0: BF800000
	v_cndmask_b32_e64 v113, v64, v113, s[40:41]                // 00000001A1B4: D1000071 00A2E340
	v_cmp_lt_u32_e64 s[40:41], v242, v65                       // 00000001A1BC: D0C90028 000283F2
	v_add_u32_e32 v242, 64, v242                               // 00000001A1C4: 69E5E4C0
	s_nop 0                                                    // 00000001A1C8: BF800000
	v_cndmask_b32_e64 v114, v64, v114, s[40:41]                // 00000001A1CC: D1000072 00A2E540
	v_cmp_lt_u32_e64 s[40:41], v243, v65                       // 00000001A1D4: D0C90028 000283F3
	v_add_u32_e32 v243, 64, v243                               // 00000001A1DC: 69E7E6C0
	s_nop 0                                                    // 00000001A1E0: BF800000
	v_cndmask_b32_e64 v115, v64, v115, s[40:41]                // 00000001A1E4: D1000073 00A2E740
	v_cmp_lt_u32_e64 s[40:41], v240, v65                       // 00000001A1EC: D0C90028 000283F0
	v_add_u32_e32 v240, 64, v240                               // 00000001A1F4: 69E1E0C0
	s_nop 0                                                    // 00000001A1F8: BF800000
	v_cndmask_b32_e64 v116, v64, v116, s[40:41]                // 00000001A1FC: D1000074 00A2E940
	v_cmp_lt_u32_e64 s[40:41], v241, v65                       // 00000001A204: D0C90028 000283F1
	v_add_u32_e32 v241, 64, v241                               // 00000001A20C: 69E3E2C0
	s_nop 0                                                    // 00000001A210: BF800000
	v_cndmask_b32_e64 v117, v64, v117, s[40:41]                // 00000001A214: D1000075 00A2EB40
	v_cmp_lt_u32_e64 s[40:41], v242, v65                       // 00000001A21C: D0C90028 000283F2
	v_add_u32_e32 v242, 64, v242                               // 00000001A224: 69E5E4C0
	s_nop 0                                                    // 00000001A228: BF800000
	v_cndmask_b32_e64 v118, v64, v118, s[40:41]                // 00000001A22C: D1000076 00A2ED40
	v_cmp_lt_u32_e64 s[40:41], v243, v65                       // 00000001A234: D0C90028 000283F3
	v_add_u32_e32 v243, 64, v243                               // 00000001A23C: 69E7E6C0
	s_nop 0                                                    // 00000001A240: BF800000
	v_cndmask_b32_e64 v119, v64, v119, s[40:41]                // 00000001A244: D1000077 00A2EF40
	v_cmp_lt_u32_e64 s[40:41], v240, v65                       // 00000001A24C: D0C90028 000283F0
	v_add_u32_e32 v240, 64, v240                               // 00000001A254: 69E1E0C0
	s_nop 0                                                    // 00000001A258: BF800000
	v_cndmask_b32_e64 v120, v64, v120, s[40:41]                // 00000001A25C: D1000078 00A2F140
	v_cmp_lt_u32_e64 s[40:41], v241, v65                       // 00000001A264: D0C90028 000283F1
	v_add_u32_e32 v241, 64, v241                               // 00000001A26C: 69E3E2C0
	s_nop 0                                                    // 00000001A270: BF800000
	v_cndmask_b32_e64 v121, v64, v121, s[40:41]                // 00000001A274: D1000079 00A2F340
	v_cmp_lt_u32_e64 s[40:41], v242, v65                       // 00000001A27C: D0C90028 000283F2
	v_add_u32_e32 v242, 64, v242                               // 00000001A284: 69E5E4C0
	s_nop 0                                                    // 00000001A288: BF800000
	v_cndmask_b32_e64 v122, v64, v122, s[40:41]                // 00000001A28C: D100007A 00A2F540
	v_cmp_lt_u32_e64 s[40:41], v243, v65                       // 00000001A294: D0C90028 000283F3
	v_add_u32_e32 v243, 64, v243                               // 00000001A29C: 69E7E6C0
	s_nop 0                                                    // 00000001A2A0: BF800000
	v_cndmask_b32_e64 v123, v64, v123, s[40:41]                // 00000001A2A4: D100007B 00A2F740
	v_cmp_lt_u32_e64 s[40:41], v240, v65                       // 00000001A2AC: D0C90028 000283F0
	v_add_u32_e32 v240, 64, v240                               // 00000001A2B4: 69E1E0C0
	s_nop 0                                                    // 00000001A2B8: BF800000
	v_cndmask_b32_e64 v124, v64, v124, s[40:41]                // 00000001A2BC: D100007C 00A2F940
	v_cmp_lt_u32_e64 s[40:41], v241, v65                       // 00000001A2C4: D0C90028 000283F1
	v_add_u32_e32 v241, 64, v241                               // 00000001A2CC: 69E3E2C0
	s_nop 0                                                    // 00000001A2D0: BF800000
	v_cndmask_b32_e64 v125, v64, v125, s[40:41]                // 00000001A2D4: D100007D 00A2FB40
	v_cmp_lt_u32_e64 s[40:41], v242, v65                       // 00000001A2DC: D0C90028 000283F2
	v_add_u32_e32 v242, 64, v242                               // 00000001A2E4: 69E5E4C0
	s_nop 0                                                    // 00000001A2E8: BF800000
	v_cndmask_b32_e64 v126, v64, v126, s[40:41]                // 00000001A2EC: D100007E 00A2FD40
	v_cmp_lt_u32_e64 s[40:41], v243, v65                       // 00000001A2F4: D0C90028 000283F3
	v_add_u32_e32 v243, 64, v243                               // 00000001A2FC: 69E7E6C0
	s_nop 0                                                    // 00000001A300: BF800000
	v_cndmask_b32_e64 v127, v64, v127, s[40:41]                // 00000001A304: D100007F 00A2FF40
	v_mov_b32_e32 v48, v112                                    // 00000001A30C: 7E600370
	v_max3_f32 v48, v112, v113, v48                            // 00000001A310: D1D30030 04C2E370
	v_max3_f32 v48, v114, v115, v48                            // 00000001A318: D1D30030 04C2E772
	v_max3_f32 v48, v116, v117, v48                            // 00000001A320: D1D30030 04C2EB74
	v_max3_f32 v48, v118, v119, v48                            // 00000001A328: D1D30030 04C2EF76
	v_max3_f32 v48, v120, v121, v48                            // 00000001A330: D1D30030 04C2F378
	v_max3_f32 v48, v122, v123, v48                            // 00000001A338: D1D30030 04C2F77A
	v_max3_f32 v48, v124, v125, v48                            // 00000001A340: D1D30030 04C2FB7C
	v_max3_f32 v48, v126, v127, v48                            // 00000001A348: D1D30030 04C2FF7E
	ds_write_b32 v8, v48 offset:16896                          // 00000001A350: D81A4200 00003008
	v_mul_u32_u24_dpp v64, v17, v54 row_newbcast:1 row_mask:0xf bank_mask:0xf// 00000001A358: 10806CFA FF015111
	v_mul_u32_u24_dpp v65, v17, v54 row_newbcast:5 row_mask:0xf bank_mask:0xf// 00000001A360: 10826CFA FF015511
	v_mul_u32_u24_dpp v66, v17, v54 row_newbcast:9 row_mask:0xf bank_mask:0xf// 00000001A368: 10846CFA FF015911
	v_mul_u32_u24_dpp v67, v17, v54 row_newbcast:13 row_mask:0xf bank_mask:0xf// 00000001A370: 10866CFA FF015D11
	v_add_u32_e32 v34, v64, v6                                 // 00000001A378: 68440D40
	v_add_u32_e32 v35, v65, v6                                 // 00000001A37C: 68460D41
	v_add_u32_e32 v36, v66, v6                                 // 00000001A380: 68480D42
	v_add_u32_e32 v37, v67, v6                                 // 00000001A384: 684A0D43
	v_mul_f32_e32 v208, v49, v208                              // 00000001A388: 0BA1A131
	v_mul_f32_e32 v209, v49, v209                              // 00000001A38C: 0BA3A331
	v_mul_f32_e32 v210, v49, v210                              // 00000001A390: 0BA5A531
	v_mul_f32_e32 v211, v49, v211                              // 00000001A394: 0BA7A731
	v_mul_f32_e32 v212, v49, v212                              // 00000001A398: 0BA9A931
	v_mul_f32_e32 v213, v49, v213                              // 00000001A39C: 0BABAB31
	v_mul_f32_e32 v214, v49, v214                              // 00000001A3A0: 0BADAD31
	v_mul_f32_e32 v215, v49, v215                              // 00000001A3A4: 0BAFAF31
	s_waitcnt lgkmcnt(0)                                       // 00000001A3A8: BF8CC07F
	s_barrier                                                  // 00000001A3AC: BF8A0000
	ds_read_b32 v64, v7 offset:16896                           // 00000001A3B0: D86C4200 40000007
	ds_read_b32 v65, v7 offset:16960                           // 00000001A3B8: D86C4240 41000007
	ds_read_b32 v66, v7 offset:17024                           // 00000001A3C0: D86C4280 42000007
	ds_read_b32 v67, v7 offset:17088                           // 00000001A3C8: D86C42C0 43000007
	ds_read_b32 v68, v7 offset:17152                           // 00000001A3D0: D86C4300 44000007
	ds_read_b32 v69, v7 offset:17216                           // 00000001A3D8: D86C4340 45000007
	ds_read_b32 v70, v7 offset:17280                           // 00000001A3E0: D86C4380 46000007
	ds_read_b32 v71, v7 offset:17344                           // 00000001A3E8: D86C43C0 47000007
	ds_read_b32 v72, v7 offset:17408                           // 00000001A3F0: D86C4400 48000007
	ds_read_b32 v73, v7 offset:17472                           // 00000001A3F8: D86C4440 49000007
	ds_read_b32 v74, v7 offset:17536                           // 00000001A400: D86C4480 4A000007
	ds_read_b32 v75, v7 offset:17600                           // 00000001A408: D86C44C0 4B000007
	ds_read_b32 v76, v7 offset:17664                           // 00000001A410: D86C4500 4C000007
	ds_read_b32 v77, v7 offset:17728                           // 00000001A418: D86C4540 4D000007
	ds_read_b32 v78, v7 offset:17792                           // 00000001A420: D86C4580 4E000007
	ds_read_b32 v79, v7 offset:17856                           // 00000001A428: D86C45C0 4F000007
	v_cvt_f32_i32_e32 v176, v176                               // 00000001A430: 7F600BB0
	v_cvt_f32_i32_e32 v177, v177                               // 00000001A434: 7F620BB1
	v_cvt_f32_i32_e32 v178, v178                               // 00000001A438: 7F640BB2
	v_cvt_f32_i32_e32 v179, v179                               // 00000001A43C: 7F660BB3
	v_cvt_f32_i32_e32 v180, v180                               // 00000001A440: 7F680BB4
	v_cvt_f32_i32_e32 v181, v181                               // 00000001A444: 7F6A0BB5
	v_cvt_f32_i32_e32 v182, v182                               // 00000001A448: 7F6C0BB6
	v_cvt_f32_i32_e32 v183, v183                               // 00000001A44C: 7F6E0BB7
	v_mul_f32_e32 v176, v44, v176                              // 00000001A450: 0B61612C
	v_mul_f32_e32 v177, v44, v177                              // 00000001A454: 0B63632C
	v_mul_f32_e32 v178, v44, v178                              // 00000001A458: 0B65652C
	v_mul_f32_e32 v179, v44, v179                              // 00000001A45C: 0B67672C
	v_mul_f32_e32 v180, v44, v180                              // 00000001A460: 0B69692C
	v_mul_f32_e32 v181, v44, v181                              // 00000001A464: 0B6B6B2C
	v_mul_f32_e32 v182, v44, v182                              // 00000001A468: 0B6D6D2C
	v_mul_f32_e32 v183, v44, v183                              // 00000001A46C: 0B6F6F2C
	s_waitcnt lgkmcnt(0)                                       // 00000001A470: BF8CC07F
	v_max3_f32 v48, v64, v65, v48                              // 00000001A474: D1D30030 04C28340
	v_max3_f32 v48, v66, v67, v48                              // 00000001A47C: D1D30030 04C28742
	v_max3_f32 v48, v68, v69, v48                              // 00000001A484: D1D30030 04C28B44
	v_max3_f32 v48, v70, v71, v48                              // 00000001A48C: D1D30030 04C28F46
	v_max3_f32 v48, v72, v73, v48                              // 00000001A494: D1D30030 04C29348
	v_max3_f32 v48, v74, v75, v48                              // 00000001A49C: D1D30030 04C2974A
	v_max3_f32 v48, v76, v77, v48                              // 00000001A4A4: D1D30030 04C29B4C
	v_max3_f32 v48, v78, v79, v48                              // 00000001A4AC: D1D30030 04C29F4E
	v_mov_b32_e32 v64, 0xff800000                              // 00000001A4B4: 7E8002FF FF800000
	v_cmp_eq_u32_e64 s[40:41], v64, v11                        // 00000001A4BC: D0CA0028 00021740
	s_nop 1                                                    // 00000001A4C4: BF800001
	v_max_f32_e32 v15, v48, v11                                // 00000001A4C8: 161E1730
	v_mul_f32_e32 v53, s64, v15                                // 00000001A4CC: 0A6A1E40
	v_fma_f32 v112, v112, s64, -v53                            // 00000001A4D0: D1CB0070 84D48170
	v_fma_f32 v113, v113, s64, -v53                            // 00000001A4D8: D1CB0071 84D48171
	v_fma_f32 v114, v114, s64, -v53                            // 00000001A4E0: D1CB0072 84D48172
	v_fma_f32 v115, v115, s64, -v53                            // 00000001A4E8: D1CB0073 84D48173
	v_fma_f32 v116, v116, s64, -v53                            // 00000001A4F0: D1CB0074 84D48174
	v_fma_f32 v117, v117, s64, -v53                            // 00000001A4F8: D1CB0075 84D48175
	v_fma_f32 v118, v118, s64, -v53                            // 00000001A500: D1CB0076 84D48176
	v_fma_f32 v119, v119, s64, -v53                            // 00000001A508: D1CB0077 84D48177
	v_fma_f32 v120, v120, s64, -v53                            // 00000001A510: D1CB0078 84D48178
	v_fma_f32 v121, v121, s64, -v53                            // 00000001A518: D1CB0079 84D48179
	v_fma_f32 v122, v122, s64, -v53                            // 00000001A520: D1CB007A 84D4817A
	v_fma_f32 v123, v123, s64, -v53                            // 00000001A528: D1CB007B 84D4817B
	v_fma_f32 v124, v124, s64, -v53                            // 00000001A530: D1CB007C 84D4817C
	v_fma_f32 v125, v125, s64, -v53                            // 00000001A538: D1CB007D 84D4817D
	v_fma_f32 v126, v126, s64, -v53                            // 00000001A540: D1CB007E 84D4817E
	v_fma_f32 v127, v127, s64, -v53                            // 00000001A548: D1CB007F 84D4817F
	v_exp_f32_e32 v112, v112                                   // 00000001A550: 7EE04170
	v_exp_f32_e32 v113, v113                                   // 00000001A554: 7EE24171
	v_exp_f32_e32 v114, v114                                   // 00000001A558: 7EE44172
	v_exp_f32_e32 v115, v115                                   // 00000001A55C: 7EE64173
	v_exp_f32_e32 v116, v116                                   // 00000001A560: 7EE84174
	v_exp_f32_e32 v117, v117                                   // 00000001A564: 7EEA4175
	v_exp_f32_e32 v118, v118                                   // 00000001A568: 7EEC4176
	v_exp_f32_e32 v119, v119                                   // 00000001A56C: 7EEE4177
	v_exp_f32_e32 v120, v120                                   // 00000001A570: 7EF04178
	v_exp_f32_e32 v121, v121                                   // 00000001A574: 7EF24179
	v_exp_f32_e32 v122, v122                                   // 00000001A578: 7EF4417A
	v_exp_f32_e32 v123, v123                                   // 00000001A57C: 7EF6417B
	v_exp_f32_e32 v124, v124                                   // 00000001A580: 7EF8417C
	v_exp_f32_e32 v125, v125                                   // 00000001A584: 7EFA417D
	v_exp_f32_e32 v126, v126                                   // 00000001A588: 7EFC417E
	v_exp_f32_e32 v127, v127                                   // 00000001A58C: 7EFE417F
	v_mul_f32_dpp v240, v252, v112 quad_perm:[0,0,0,0] row_mask:0xf bank_mask:0xf// 00000001A590: 0BE0E0FA FF0000FC
	v_mul_f32_dpp v241, v252, v113 quad_perm:[1,1,1,1] row_mask:0xf bank_mask:0xf// 00000001A598: 0BE2E2FA FF0055FC
	v_mul_f32_dpp v242, v252, v114 quad_perm:[2,2,2,2] row_mask:0xf bank_mask:0xf// 00000001A5A0: 0BE4E4FA FF00AAFC
	v_mul_f32_dpp v243, v252, v115 quad_perm:[3,3,3,3] row_mask:0xf bank_mask:0xf// 00000001A5A8: 0BE6E6FA FF00FFFC
	v_mul_f32_dpp v244, v253, v116 quad_perm:[0,0,0,0] row_mask:0xf bank_mask:0xf// 00000001A5B0: 0BE8E8FA FF0000FD
	v_mul_f32_dpp v245, v253, v117 quad_perm:[1,1,1,1] row_mask:0xf bank_mask:0xf// 00000001A5B8: 0BEAEAFA FF0055FD
	v_mul_f32_dpp v246, v253, v118 quad_perm:[2,2,2,2] row_mask:0xf bank_mask:0xf// 00000001A5C0: 0BECECFA FF00AAFD
	v_mul_f32_dpp v247, v253, v119 quad_perm:[3,3,3,3] row_mask:0xf bank_mask:0xf// 00000001A5C8: 0BEEEEFA FF00FFFD
	v_mul_f32_dpp v248, v254, v120 quad_perm:[0,0,0,0] row_mask:0xf bank_mask:0xf// 00000001A5D0: 0BF0F0FA FF0000FE
	v_mul_f32_dpp v249, v254, v121 quad_perm:[1,1,1,1] row_mask:0xf bank_mask:0xf// 00000001A5D8: 0BF2F2FA FF0055FE
	v_mul_f32_dpp v250, v254, v122 quad_perm:[2,2,2,2] row_mask:0xf bank_mask:0xf// 00000001A5E0: 0BF4F4FA FF00AAFE
	v_mul_f32_dpp v251, v254, v123 quad_perm:[3,3,3,3] row_mask:0xf bank_mask:0xf// 00000001A5E8: 0BF6F6FA FF00FFFE
	v_mul_f32_dpp v252, v255, v124 quad_perm:[0,0,0,0] row_mask:0xf bank_mask:0xf// 00000001A5F0: 0BF8F8FA FF0000FF
	v_mul_f32_dpp v253, v255, v125 quad_perm:[1,1,1,1] row_mask:0xf bank_mask:0xf// 00000001A5F8: 0BFAFAFA FF0055FF
	v_mul_f32_dpp v254, v255, v126 quad_perm:[2,2,2,2] row_mask:0xf bank_mask:0xf// 00000001A600: 0BFCFCFA FF00AAFF
	v_mul_f32_dpp v255, v255, v127 quad_perm:[3,3,3,3] row_mask:0xf bank_mask:0xf// 00000001A608: 0BFEFEFA FF00FFFF
	v_mov_b32_e32 v48, 0x358637bd                              // 00000001A610: 7E6002FF 358637BD
	v_max3_f32 v48, |v240|, |v241|, v48                        // 00000001A618: D1D30330 04C3E3F0
	v_max3_f32 v48, |v242|, |v243|, v48                        // 00000001A620: D1D30330 04C3E7F2
	v_max3_f32 v48, |v244|, |v245|, v48                        // 00000001A628: D1D30330 04C3EBF4
	v_max3_f32 v48, |v246|, |v247|, v48                        // 00000001A630: D1D30330 04C3EFF6
	v_max3_f32 v48, |v248|, |v249|, v48                        // 00000001A638: D1D30330 04C3F3F8
	v_max3_f32 v48, |v250|, |v251|, v48                        // 00000001A640: D1D30330 04C3F7FA
	v_max3_f32 v48, |v252|, |v253|, v48                        // 00000001A648: D1D30330 04C3FBFC
	v_max3_f32 v48, |v254|, |v255|, v48                        // 00000001A650: D1D30330 04C3FFFE
	ds_write_b32 v8, v48 offset:20992                          // 00000001A658: D81A5200 00003008
	v_sub_f32_e32 v49, v11, v15                                // 00000001A660: 04621F0B
	v_cndmask_b32_e64 v49, v49, 0, s[40:41]                    // 00000001A664: D1000031 00A10131
	v_mov_b32_e32 v11, v15                                     // 00000001A66C: 7E16030F
	v_mul_f32_e32 v49, s64, v49                                // 00000001A670: 0A626240
	v_exp_f32_e32 v49, v49                                     // 00000001A674: 7E624131
	s_waitcnt lgkmcnt(0)                                       // 00000001A678: BF8CC07F
	s_barrier                                                  // 00000001A67C: BF8A0000
	ds_read_b32 v64, v7 offset:20992                           // 00000001A680: D86C5200 40000007
	ds_read_b32 v65, v7 offset:21056                           // 00000001A688: D86C5240 41000007
	ds_read_b32 v66, v7 offset:21120                           // 00000001A690: D86C5280 42000007
	ds_read_b32 v67, v7 offset:21184                           // 00000001A698: D86C52C0 43000007
	ds_read_b32 v68, v7 offset:21248                           // 00000001A6A0: D86C5300 44000007
	ds_read_b32 v69, v7 offset:21312                           // 00000001A6A8: D86C5340 45000007
	ds_read_b32 v70, v7 offset:21376                           // 00000001A6B0: D86C5380 46000007
	ds_read_b32 v71, v7 offset:21440                           // 00000001A6B8: D86C53C0 47000007
	ds_read_b32 v72, v7 offset:21504                           // 00000001A6C0: D86C5400 48000007
	ds_read_b32 v73, v7 offset:21568                           // 00000001A6C8: D86C5440 49000007
	ds_read_b32 v74, v7 offset:21632                           // 00000001A6D0: D86C5480 4A000007
	ds_read_b32 v75, v7 offset:21696                           // 00000001A6D8: D86C54C0 4B000007
	ds_read_b32 v76, v7 offset:21760                           // 00000001A6E0: D86C5500 4C000007
	ds_read_b32 v77, v7 offset:21824                           // 00000001A6E8: D86C5540 4D000007
	ds_read_b32 v78, v7 offset:21888                           // 00000001A6F0: D86C5580 4E000007
	ds_read_b32 v79, v7 offset:21952                           // 00000001A6F8: D86C55C0 4F000007
	v_mul_f32_e32 v38, v49, v38                                // 00000001A700: 0A4C4D31
	v_mov_b32_e32 v15, v112                                    // 00000001A704: 7E1E0370
	v_add_f32_e32 v15, v113, v15                               // 00000001A708: 021E1F71
	v_add_f32_e32 v15, v114, v15                               // 00000001A70C: 021E1F72
	v_add_f32_e32 v15, v115, v15                               // 00000001A710: 021E1F73
	v_add_f32_e32 v15, v116, v15                               // 00000001A714: 021E1F74
	v_add_f32_e32 v15, v117, v15                               // 00000001A718: 021E1F75
	v_add_f32_e32 v15, v118, v15                               // 00000001A71C: 021E1F76
	v_add_f32_e32 v15, v119, v15                               // 00000001A720: 021E1F77
	v_add_f32_e32 v15, v120, v15                               // 00000001A724: 021E1F78
	v_add_f32_e32 v15, v121, v15                               // 00000001A728: 021E1F79
	v_add_f32_e32 v15, v122, v15                               // 00000001A72C: 021E1F7A
	v_add_f32_e32 v15, v123, v15                               // 00000001A730: 021E1F7B
	v_add_f32_e32 v15, v124, v15                               // 00000001A734: 021E1F7C
	v_add_f32_e32 v15, v125, v15                               // 00000001A738: 021E1F7D
	v_add_f32_e32 v15, v126, v15                               // 00000001A73C: 021E1F7E
	v_add_f32_e32 v15, v127, v15                               // 00000001A740: 021E1F7F
	v_add_f32_e32 v38, v15, v38                                // 00000001A744: 024C4D0F
	s_waitcnt lgkmcnt(0)                                       // 00000001A748: BF8CC07F
	v_max3_f32 v48, |v64|, |v65|, v48                          // 00000001A74C: D1D30330 04C28340
	v_max3_f32 v48, |v66|, |v67|, v48                          // 00000001A754: D1D30330 04C28742
	v_max3_f32 v48, |v68|, |v69|, v48                          // 00000001A75C: D1D30330 04C28B44
	v_max3_f32 v48, |v70|, |v71|, v48                          // 00000001A764: D1D30330 04C28F46
	v_max3_f32 v48, |v72|, |v73|, v48                          // 00000001A76C: D1D30330 04C29348
	v_max3_f32 v48, |v74|, |v75|, v48                          // 00000001A774: D1D30330 04C2974A
	v_max3_f32 v48, |v76|, |v77|, v48                          // 00000001A77C: D1D30330 04C29B4C
	v_max3_f32 v48, |v78|, |v79|, v48                          // 00000001A784: D1D30330 04C29F4E
	s_nop 2                                                    // 00000001A78C: BF800002
	v_rcp_f32_e32 v48, v48                                     // 00000001A790: 7E604530
	s_nop 1                                                    // 00000001A794: BF800001
	v_mul_f32_e32 v48, 0x42fe0000, v48                         // 00000001A798: 0A6060FF 42FE0000
	v_mul_f32_e32 v112, v48, v240                              // 00000001A7A0: 0AE1E130
	v_mul_f32_e32 v113, v48, v241                              // 00000001A7A4: 0AE3E330
	v_mul_f32_e32 v114, v48, v242                              // 00000001A7A8: 0AE5E530
	v_mul_f32_e32 v115, v48, v243                              // 00000001A7AC: 0AE7E730
	v_mul_f32_e32 v116, v48, v244                              // 00000001A7B0: 0AE9E930
	v_mul_f32_e32 v117, v48, v245                              // 00000001A7B4: 0AEBEB30
	v_mul_f32_e32 v118, v48, v246                              // 00000001A7B8: 0AEDED30
	v_mul_f32_e32 v119, v48, v247                              // 00000001A7BC: 0AEFEF30
	v_mul_f32_e32 v120, v48, v248                              // 00000001A7C0: 0AF1F130
	v_mul_f32_e32 v121, v48, v249                              // 00000001A7C4: 0AF3F330
	v_mul_f32_e32 v122, v48, v250                              // 00000001A7C8: 0AF5F530
	v_mul_f32_e32 v123, v48, v251                              // 00000001A7CC: 0AF7F730
	v_mul_f32_e32 v124, v48, v252                              // 00000001A7D0: 0AF9F930
	v_mul_f32_e32 v125, v48, v253                              // 00000001A7D4: 0AFBFB30
	v_mul_f32_e32 v126, v48, v254                              // 00000001A7D8: 0AFDFD30
	v_mul_f32_e32 v127, v48, v255                              // 00000001A7DC: 0AFFFF30
	v_cvt_i32_f32_e32 v112, v112                               // 00000001A7E0: 7EE01170
	v_cvt_i32_f32_e32 v113, v113                               // 00000001A7E4: 7EE21171
	v_cvt_i32_f32_e32 v114, v114                               // 00000001A7E8: 7EE41172
	v_cvt_i32_f32_e32 v115, v115                               // 00000001A7EC: 7EE61173
	v_cvt_i32_f32_e32 v116, v116                               // 00000001A7F0: 7EE81174
	v_cvt_i32_f32_e32 v117, v117                               // 00000001A7F4: 7EEA1175
	v_cvt_i32_f32_e32 v118, v118                               // 00000001A7F8: 7EEC1176
	v_cvt_i32_f32_e32 v119, v119                               // 00000001A7FC: 7EEE1177
	v_cvt_i32_f32_e32 v120, v120                               // 00000001A800: 7EF01178
	v_cvt_i32_f32_e32 v121, v121                               // 00000001A804: 7EF21179
	v_cvt_i32_f32_e32 v122, v122                               // 00000001A808: 7EF4117A
	v_cvt_i32_f32_e32 v123, v123                               // 00000001A80C: 7EF6117B
	v_cvt_i32_f32_e32 v124, v124                               // 00000001A810: 7EF8117C
	v_cvt_i32_f32_e32 v125, v125                               // 00000001A814: 7EFA117D
	v_cvt_i32_f32_e32 v126, v126                               // 00000001A818: 7EFC117E
	v_cvt_i32_f32_e32 v127, v127                               // 00000001A81C: 7EFE117F
	v_perm_b32 v112, v113, v112, s53                           // 00000001A820: D1ED0070 00D6E171
	v_perm_b32 v112, v114, v112, s54                           // 00000001A828: D1ED0070 00DAE172
	v_perm_b32 v112, v115, v112, s55                           // 00000001A830: D1ED0070 00DEE173
	v_perm_b32 v113, v117, v116, s53                           // 00000001A838: D1ED0071 00D6E975
	v_perm_b32 v113, v118, v113, s54                           // 00000001A840: D1ED0071 00DAE376
	v_perm_b32 v113, v119, v113, s55                           // 00000001A848: D1ED0071 00DEE377
	v_perm_b32 v114, v121, v120, s53                           // 00000001A850: D1ED0072 00D6F179
	v_perm_b32 v114, v122, v114, s54                           // 00000001A858: D1ED0072 00DAE57A
	v_perm_b32 v114, v123, v114, s55                           // 00000001A860: D1ED0072 00DEE57B
	v_perm_b32 v115, v125, v124, s53                           // 00000001A868: D1ED0073 00D6F97D
	v_perm_b32 v115, v126, v115, s54                           // 00000001A870: D1ED0073 00DAE77E
	v_perm_b32 v115, v127, v115, s55                           // 00000001A878: D1ED0073 00DEE77F
	ds_write_b32 v10, v112 offset:25088                        // 00000001A880: D81A6200 0000700A
	ds_write_b32 v10, v113 offset:26112                        // 00000001A888: D81A6600 0000710A
	ds_write_b32 v10, v114 offset:27136                        // 00000001A890: D81A6A00 0000720A
	ds_write_b32 v10, v115 offset:28160                        // 00000001A898: D81A6E00 0000730A
	v_add_f32_e32 v208, v208, v176                             // 00000001A8A0: 03A161D0
	v_add_f32_e32 v209, v209, v177                             // 00000001A8A4: 03A363D1
	v_add_f32_e32 v210, v210, v178                             // 00000001A8A8: 03A565D2
	v_add_f32_e32 v211, v211, v179                             // 00000001A8AC: 03A767D3
	v_add_f32_e32 v212, v212, v180                             // 00000001A8B0: 03A969D4
	v_add_f32_e32 v213, v213, v181                             // 00000001A8B4: 03AB6BD5
	v_add_f32_e32 v214, v214, v182                             // 00000001A8B8: 03AD6DD6
	v_add_f32_e32 v215, v215, v183                             // 00000001A8BC: 03AF6FD7
	v_rcp_f32_e32 v44, v48                                     // 00000001A8C0: 7E584530
	s_waitcnt lgkmcnt(0)                                       // 00000001A8C4: BF8CC07F
	s_barrier                                                  // 00000001A8C8: BF8A0000
	ds_read_b64 v[112:113], v9 offset:25088                    // 00000001A8CC: D8EC6200 70000009
	ds_read_b64 v[114:115], v9 offset:25216                    // 00000001A8D4: D8EC6280 72000009
	ds_read_b64 v[116:117], v9 offset:26112                    // 00000001A8DC: D8EC6600 74000009
	ds_read_b64 v[118:119], v9 offset:26240                    // 00000001A8E4: D8EC6680 76000009
	ds_read_b64 v[120:121], v9 offset:27136                    // 00000001A8EC: D8EC6A00 78000009
	ds_read_b64 v[122:123], v9 offset:27264                    // 00000001A8F4: D8EC6A80 7A000009
	ds_read_b64 v[124:125], v9 offset:28160                    // 00000001A8FC: D8EC6E00 7C000009
	ds_read_b64 v[126:127], v9 offset:28288                    // 00000001A904: D8EC6E80 7E000009
	v_mov_b32_dpp v64, v42 row_shr:4 row_mask:0xf bank_mask:0xf// 00000001A90C: 7E8002FA FF01142A
	v_mov_b32_dpp v65, v42 row_shl:4 row_mask:0xf bank_mask:0xf// 00000001A914: 7E8202FA FF01042A
	v_cndmask_b32_e64 v248, v42, v64, s[44:45]                 // 00000001A91C: D10000F8 00B2812A
	v_cndmask_b32_e64 v249, v65, v42, s[44:45]                 // 00000001A924: D10000F9 00B25541
	v_mov_b32_dpp v64, v248 row_shr:8 row_mask:0xf bank_mask:0xf// 00000001A92C: 7E8002FA FF0118F8
	v_mov_b32_dpp v65, v248 row_shl:8 row_mask:0xf bank_mask:0xf// 00000001A934: 7E8202FA FF0108F8
	v_mov_b32_dpp v66, v249 row_shr:8 row_mask:0xf bank_mask:0xf// 00000001A93C: 7E8402FA FF0118F9
	v_mov_b32_dpp v67, v249 row_shl:8 row_mask:0xf bank_mask:0xf// 00000001A944: 7E8602FA FF0108F9
	v_mov_b32_e32 v68, v248                                    // 00000001A94C: 7E8803F8
	v_mov_b32_e32 v69, v249                                    // 00000001A950: 7E8A03F9
	v_cndmask_b32_e64 v248, v68, v64, s[42:43]                 // 00000001A954: D10000F8 00AA8144
	v_cndmask_b32_e64 v250, v68, v65, s[78:79]                 // 00000001A95C: D10000FA 013A8344
	v_cndmask_b32_e64 v249, v69, v66, s[42:43]                 // 00000001A964: D10000F9 00AA8545
	v_cndmask_b32_e64 v251, v69, v67, s[78:79]                 // 00000001A96C: D10000FB 013A8745
	v_mov_b32_dpp v64, v57 row_shr:4 row_mask:0xf bank_mask:0xf// 00000001A974: 7E8002FA FF011439
	v_mov_b32_dpp v65, v57 row_shl:4 row_mask:0xf bank_mask:0xf// 00000001A97C: 7E8202FA FF010439
	v_cndmask_b32_e64 v252, v57, v64, s[44:45]                 // 00000001A984: D10000FC 00B28139
	v_cndmask_b32_e64 v253, v65, v57, s[44:45]                 // 00000001A98C: D10000FD 00B27341
	v_mov_b32_dpp v64, v252 row_shr:8 row_mask:0xf bank_mask:0xf// 00000001A994: 7E8002FA FF0118FC
	v_mov_b32_dpp v65, v252 row_shl:8 row_mask:0xf bank_mask:0xf// 00000001A99C: 7E8202FA FF0108FC
	v_mov_b32_dpp v66, v253 row_shr:8 row_mask:0xf bank_mask:0xf// 00000001A9A4: 7E8402FA FF0118FD
	v_mov_b32_dpp v67, v253 row_shl:8 row_mask:0xf bank_mask:0xf// 00000001A9AC: 7E8602FA FF0108FD
	v_mov_b32_e32 v68, v252                                    // 00000001A9B4: 7E8803FC
	v_mov_b32_e32 v69, v253                                    // 00000001A9B8: 7E8A03FD
	v_cndmask_b32_e64 v252, v68, v64, s[42:43]                 // 00000001A9BC: D10000FC 00AA8144
	v_cndmask_b32_e64 v254, v68, v65, s[78:79]                 // 00000001A9C4: D10000FE 013A8344
	v_cndmask_b32_e64 v253, v69, v66, s[42:43]                 // 00000001A9CC: D10000FD 00AA8545
	v_cndmask_b32_e64 v255, v69, v67, s[78:79]                 // 00000001A9D4: D10000FF 013A8745
	v_cvt_f32_i32_e32 v128, v128                               // 00000001A9DC: 7F000B80
	v_cvt_f32_i32_e32 v129, v129                               // 00000001A9E0: 7F020B81
	v_cvt_f32_i32_e32 v130, v130                               // 00000001A9E4: 7F040B82
	v_cvt_f32_i32_e32 v131, v131                               // 00000001A9E8: 7F060B83
	v_cvt_f32_i32_e32 v132, v132                               // 00000001A9EC: 7F080B84
	v_cvt_f32_i32_e32 v133, v133                               // 00000001A9F0: 7F0A0B85
	v_cvt_f32_i32_e32 v134, v134                               // 00000001A9F4: 7F0C0B86
	v_cvt_f32_i32_e32 v135, v135                               // 00000001A9F8: 7F0E0B87
	v_cvt_f32_i32_e32 v136, v136                               // 00000001A9FC: 7F100B88
	v_cvt_f32_i32_e32 v137, v137                               // 00000001AA00: 7F120B89
	v_cvt_f32_i32_e32 v138, v138                               // 00000001AA04: 7F140B8A
	v_cvt_f32_i32_e32 v139, v139                               // 00000001AA08: 7F160B8B
	v_cvt_f32_i32_e32 v140, v140                               // 00000001AA0C: 7F180B8C
	v_cvt_f32_i32_e32 v141, v141                               // 00000001AA10: 7F1A0B8D
	v_cvt_f32_i32_e32 v142, v142                               // 00000001AA14: 7F1C0B8E
	v_cvt_f32_i32_e32 v143, v143                               // 00000001AA18: 7F1E0B8F
	v_mul_f32_e32 v128, v19, v128                              // 00000001AA1C: 0B010113
	v_mul_f32_e32 v129, v19, v129                              // 00000001AA20: 0B030313
	v_mul_f32_e32 v130, v19, v130                              // 00000001AA24: 0B050513
	v_mul_f32_e32 v131, v19, v131                              // 00000001AA28: 0B070713
	v_mul_f32_e32 v132, v19, v132                              // 00000001AA2C: 0B090913
	v_mul_f32_e32 v133, v19, v133                              // 00000001AA30: 0B0B0B13
	v_mul_f32_e32 v134, v19, v134                              // 00000001AA34: 0B0D0D13
	v_mul_f32_e32 v135, v19, v135                              // 00000001AA38: 0B0F0F13
	v_mul_f32_e32 v136, v19, v136                              // 00000001AA3C: 0B111113
	v_mul_f32_e32 v137, v19, v137                              // 00000001AA40: 0B131313
	v_mul_f32_e32 v138, v19, v138                              // 00000001AA44: 0B151513
	v_mul_f32_e32 v139, v19, v139                              // 00000001AA48: 0B171713
	v_mul_f32_e32 v140, v19, v140                              // 00000001AA4C: 0B191913
	v_mul_f32_e32 v141, v19, v141                              // 00000001AA50: 0B1B1B13
	v_mul_f32_e32 v142, v19, v142                              // 00000001AA54: 0B1D1D13
	v_mul_f32_e32 v143, v19, v143                              // 00000001AA58: 0B1F1F13
	v_mul_f32_dpp v128, v248, v128 quad_perm:[0,0,0,0] row_mask:0xf bank_mask:0xf// 00000001AA5C: 0B0100FA FF0000F8
	v_mul_f32_dpp v129, v248, v129 quad_perm:[1,1,1,1] row_mask:0xf bank_mask:0xf// 00000001AA64: 0B0302FA FF0055F8
	v_mul_f32_dpp v130, v248, v130 quad_perm:[2,2,2,2] row_mask:0xf bank_mask:0xf// 00000001AA6C: 0B0504FA FF00AAF8
	v_mul_f32_dpp v131, v248, v131 quad_perm:[3,3,3,3] row_mask:0xf bank_mask:0xf// 00000001AA74: 0B0706FA FF00FFF8
	v_mul_f32_dpp v132, v249, v132 quad_perm:[0,0,0,0] row_mask:0xf bank_mask:0xf// 00000001AA7C: 0B0908FA FF0000F9
	v_mul_f32_dpp v133, v249, v133 quad_perm:[1,1,1,1] row_mask:0xf bank_mask:0xf// 00000001AA84: 0B0B0AFA FF0055F9
	v_mul_f32_dpp v134, v249, v134 quad_perm:[2,2,2,2] row_mask:0xf bank_mask:0xf// 00000001AA8C: 0B0D0CFA FF00AAF9
	v_mul_f32_dpp v135, v249, v135 quad_perm:[3,3,3,3] row_mask:0xf bank_mask:0xf// 00000001AA94: 0B0F0EFA FF00FFF9
	v_mul_f32_dpp v136, v250, v136 quad_perm:[0,0,0,0] row_mask:0xf bank_mask:0xf// 00000001AA9C: 0B1110FA FF0000FA
	v_mul_f32_dpp v137, v250, v137 quad_perm:[1,1,1,1] row_mask:0xf bank_mask:0xf// 00000001AAA4: 0B1312FA FF0055FA
	v_mul_f32_dpp v138, v250, v138 quad_perm:[2,2,2,2] row_mask:0xf bank_mask:0xf// 00000001AAAC: 0B1514FA FF00AAFA
	v_mul_f32_dpp v139, v250, v139 quad_perm:[3,3,3,3] row_mask:0xf bank_mask:0xf// 00000001AAB4: 0B1716FA FF00FFFA
	v_mul_f32_dpp v140, v251, v140 quad_perm:[0,0,0,0] row_mask:0xf bank_mask:0xf// 00000001AABC: 0B1918FA FF0000FB
	v_mul_f32_dpp v141, v251, v141 quad_perm:[1,1,1,1] row_mask:0xf bank_mask:0xf// 00000001AAC4: 0B1B1AFA FF0055FB
	v_mul_f32_dpp v142, v251, v142 quad_perm:[2,2,2,2] row_mask:0xf bank_mask:0xf// 00000001AACC: 0B1D1CFA FF00AAFB
	v_mul_f32_dpp v143, v251, v143 quad_perm:[3,3,3,3] row_mask:0xf bank_mask:0xf// 00000001AAD4: 0B1F1EFA FF00FFFB
	s_cmp_le_i32 s90, s89                                      // 00000001AADC: BF05595A
	s_cbranch_scc1 label_62AA                                  // 00000001AAE0: BF850071
	v_mov_b32_e32 v66, 0xff800000                              // 00000001AAE4: 7E8402FF FF800000
	s_mov_b32 s60, s90                                         // 00000001AAEC: BEBC005A
	s_add_u32 s61, s89, 0xff                                   // 00000001AAF0: 803DFF59 000000FF
	v_mov_b32_e32 v64, s61                                     // 00000001AAF8: 7E80023D
	v_lshrrev_b32_e32 v240, 4, v0                              // 00000001AAFC: 21E00084
	v_mul_i32_i24_e32 v240, 4, v240                            // 00000001AB00: 0DE1E084
	v_add_u32_e32 v240, s60, v240                              // 00000001AB04: 69E1E03C
	s_mov_b32 s61, 1                                           // 00000001AB08: BEBD0081
	s_mul_i32 s60, 16, s7                                      // 00000001AB0C: 923C0790
	v_sub_u32_e64 v240, v240, s61                              // 00000001AB10: D13500F0 00007BF0
	v_add_u32_e32 v240, s60, v240                              // 00000001AB18: 69E1E03C
	v_add_u32_e32 v241, 1, v240                                // 00000001AB1C: 69E3E081
	v_add_u32_e32 v242, 2, v240                                // 00000001AB20: 69E5E082
	v_add_u32_e32 v243, 3, v240                                // 00000001AB24: 69E7E083
	v_cmp_le_u32_e64 s[40:41], v240, v64                       // 00000001AB28: D0CB0028 000281F0
	v_add_u32_e32 v240, 64, v240                               // 00000001AB30: 69E1E0C0
	s_nop 0                                                    // 00000001AB34: BF800000
	v_cndmask_b32_e64 v128, v66, v128, s[40:41]                // 00000001AB38: D1000080 00A30142
	v_cmp_le_u32_e64 s[40:41], v241, v64                       // 00000001AB40: D0CB0028 000281F1
	v_add_u32_e32 v241, 64, v241                               // 00000001AB48: 69E3E2C0
	s_nop 0                                                    // 00000001AB4C: BF800000
	v_cndmask_b32_e64 v129, v66, v129, s[40:41]                // 00000001AB50: D1000081 00A30342
	v_cmp_le_u32_e64 s[40:41], v242, v64                       // 00000001AB58: D0CB0028 000281F2
	v_add_u32_e32 v242, 64, v242                               // 00000001AB60: 69E5E4C0
	s_nop 0                                                    // 00000001AB64: BF800000
	v_cndmask_b32_e64 v130, v66, v130, s[40:41]                // 00000001AB68: D1000082 00A30542
	v_cmp_le_u32_e64 s[40:41], v243, v64                       // 00000001AB70: D0CB0028 000281F3
	v_add_u32_e32 v243, 64, v243                               // 00000001AB78: 69E7E6C0
	s_nop 0                                                    // 00000001AB7C: BF800000
	v_cndmask_b32_e64 v131, v66, v131, s[40:41]                // 00000001AB80: D1000083 00A30742
	v_cmp_le_u32_e64 s[40:41], v240, v64                       // 00000001AB88: D0CB0028 000281F0
	v_add_u32_e32 v240, 64, v240                               // 00000001AB90: 69E1E0C0
	s_nop 0                                                    // 00000001AB94: BF800000
	v_cndmask_b32_e64 v132, v66, v132, s[40:41]                // 00000001AB98: D1000084 00A30942
	v_cmp_le_u32_e64 s[40:41], v241, v64                       // 00000001ABA0: D0CB0028 000281F1
	v_add_u32_e32 v241, 64, v241                               // 00000001ABA8: 69E3E2C0
	s_nop 0                                                    // 00000001ABAC: BF800000
	v_cndmask_b32_e64 v133, v66, v133, s[40:41]                // 00000001ABB0: D1000085 00A30B42
	v_cmp_le_u32_e64 s[40:41], v242, v64                       // 00000001ABB8: D0CB0028 000281F2
	v_add_u32_e32 v242, 64, v242                               // 00000001ABC0: 69E5E4C0
	s_nop 0                                                    // 00000001ABC4: BF800000
	v_cndmask_b32_e64 v134, v66, v134, s[40:41]                // 00000001ABC8: D1000086 00A30D42
	v_cmp_le_u32_e64 s[40:41], v243, v64                       // 00000001ABD0: D0CB0028 000281F3
	v_add_u32_e32 v243, 64, v243                               // 00000001ABD8: 69E7E6C0
	s_nop 0                                                    // 00000001ABDC: BF800000
	v_cndmask_b32_e64 v135, v66, v135, s[40:41]                // 00000001ABE0: D1000087 00A30F42
	v_cmp_le_u32_e64 s[40:41], v240, v64                       // 00000001ABE8: D0CB0028 000281F0
	v_add_u32_e32 v240, 64, v240                               // 00000001ABF0: 69E1E0C0
	s_nop 0                                                    // 00000001ABF4: BF800000
	v_cndmask_b32_e64 v136, v66, v136, s[40:41]                // 00000001ABF8: D1000088 00A31142
	v_cmp_le_u32_e64 s[40:41], v241, v64                       // 00000001AC00: D0CB0028 000281F1
	v_add_u32_e32 v241, 64, v241                               // 00000001AC08: 69E3E2C0
	s_nop 0                                                    // 00000001AC0C: BF800000
	v_cndmask_b32_e64 v137, v66, v137, s[40:41]                // 00000001AC10: D1000089 00A31342
	v_cmp_le_u32_e64 s[40:41], v242, v64                       // 00000001AC18: D0CB0028 000281F2
	v_add_u32_e32 v242, 64, v242                               // 00000001AC20: 69E5E4C0
	s_nop 0                                                    // 00000001AC24: BF800000
	v_cndmask_b32_e64 v138, v66, v138, s[40:41]                // 00000001AC28: D100008A 00A31542
	v_cmp_le_u32_e64 s[40:41], v243, v64                       // 00000001AC30: D0CB0028 000281F3
	v_add_u32_e32 v243, 64, v243                               // 00000001AC38: 69E7E6C0
	s_nop 0                                                    // 00000001AC3C: BF800000
	v_cndmask_b32_e64 v139, v66, v139, s[40:41]                // 00000001AC40: D100008B 00A31742
	v_cmp_le_u32_e64 s[40:41], v240, v64                       // 00000001AC48: D0CB0028 000281F0
	v_add_u32_e32 v240, 64, v240                               // 00000001AC50: 69E1E0C0
	s_nop 0                                                    // 00000001AC54: BF800000
	v_cndmask_b32_e64 v140, v66, v140, s[40:41]                // 00000001AC58: D100008C 00A31942
	v_cmp_le_u32_e64 s[40:41], v241, v64                       // 00000001AC60: D0CB0028 000281F1
	v_add_u32_e32 v241, 64, v241                               // 00000001AC68: 69E3E2C0
	s_nop 0                                                    // 00000001AC6C: BF800000
	v_cndmask_b32_e64 v141, v66, v141, s[40:41]                // 00000001AC70: D100008D 00A31B42
	v_cmp_le_u32_e64 s[40:41], v242, v64                       // 00000001AC78: D0CB0028 000281F2
	v_add_u32_e32 v242, 64, v242                               // 00000001AC80: 69E5E4C0
	s_nop 0                                                    // 00000001AC84: BF800000
	v_cndmask_b32_e64 v142, v66, v142, s[40:41]                // 00000001AC88: D100008E 00A31D42
	v_cmp_le_u32_e64 s[40:41], v243, v64                       // 00000001AC90: D0CB0028 000281F3
	v_add_u32_e32 v243, 64, v243                               // 00000001AC98: 69E7E6C0
	s_nop 0                                                    // 00000001AC9C: BF800000
	v_cndmask_b32_e64 v143, v66, v143, s[40:41]                // 00000001ACA0: D100008F 00A31F42

000000000001aca8 <label_62AA>:
	s_and_b32 s60, s72, 0xff                                   // 00000001ACA8: 863CFF48 000000FF
	v_mov_b32_e32 v65, s60                                     // 00000001ACB0: 7E82023C
	v_lshrrev_b32_e32 v240, 4, v0                              // 00000001ACB4: 21E00084
	v_mul_i32_i24_e32 v240, 4, v240                            // 00000001ACB8: 0DE1E084
	s_mul_i32 s60, s7, 16                                      // 00000001ACBC: 923C9007
	v_add_u32_e32 v240, s60, v240                              // 00000001ACC0: 69E1E03C
	v_add_u32_e32 v241, 1, v240                                // 00000001ACC4: 69E3E081
	v_add_u32_e32 v242, 2, v240                                // 00000001ACC8: 69E5E082
	v_add_u32_e32 v243, 3, v240                                // 00000001ACCC: 69E7E083
	v_mov_b32_e32 v64, 0xff800000                              // 00000001ACD0: 7E8002FF FF800000
	v_cmp_lt_u32_e64 s[40:41], v240, v65                       // 00000001ACD8: D0C90028 000283F0
	v_add_u32_e32 v240, 64, v240                               // 00000001ACE0: 69E1E0C0
	s_nop 0                                                    // 00000001ACE4: BF800000
	v_cndmask_b32_e64 v128, v64, v128, s[40:41]                // 00000001ACE8: D1000080 00A30140
	v_cmp_lt_u32_e64 s[40:41], v241, v65                       // 00000001ACF0: D0C90028 000283F1
	v_add_u32_e32 v241, 64, v241                               // 00000001ACF8: 69E3E2C0
	s_nop 0                                                    // 00000001ACFC: BF800000
	v_cndmask_b32_e64 v129, v64, v129, s[40:41]                // 00000001AD00: D1000081 00A30340
	v_cmp_lt_u32_e64 s[40:41], v242, v65                       // 00000001AD08: D0C90028 000283F2
	v_add_u32_e32 v242, 64, v242                               // 00000001AD10: 69E5E4C0
	s_nop 0                                                    // 00000001AD14: BF800000
	v_cndmask_b32_e64 v130, v64, v130, s[40:41]                // 00000001AD18: D1000082 00A30540
	v_cmp_lt_u32_e64 s[40:41], v243, v65                       // 00000001AD20: D0C90028 000283F3
	v_add_u32_e32 v243, 64, v243                               // 00000001AD28: 69E7E6C0
	s_nop 0                                                    // 00000001AD2C: BF800000
	v_cndmask_b32_e64 v131, v64, v131, s[40:41]                // 00000001AD30: D1000083 00A30740
	v_cmp_lt_u32_e64 s[40:41], v240, v65                       // 00000001AD38: D0C90028 000283F0
	v_add_u32_e32 v240, 64, v240                               // 00000001AD40: 69E1E0C0
	s_nop 0                                                    // 00000001AD44: BF800000
	v_cndmask_b32_e64 v132, v64, v132, s[40:41]                // 00000001AD48: D1000084 00A30940
	v_cmp_lt_u32_e64 s[40:41], v241, v65                       // 00000001AD50: D0C90028 000283F1
	v_add_u32_e32 v241, 64, v241                               // 00000001AD58: 69E3E2C0
	s_nop 0                                                    // 00000001AD5C: BF800000
	v_cndmask_b32_e64 v133, v64, v133, s[40:41]                // 00000001AD60: D1000085 00A30B40
	v_cmp_lt_u32_e64 s[40:41], v242, v65                       // 00000001AD68: D0C90028 000283F2
	v_add_u32_e32 v242, 64, v242                               // 00000001AD70: 69E5E4C0
	s_nop 0                                                    // 00000001AD74: BF800000
	v_cndmask_b32_e64 v134, v64, v134, s[40:41]                // 00000001AD78: D1000086 00A30D40
	v_cmp_lt_u32_e64 s[40:41], v243, v65                       // 00000001AD80: D0C90028 000283F3
	v_add_u32_e32 v243, 64, v243                               // 00000001AD88: 69E7E6C0
	s_nop 0                                                    // 00000001AD8C: BF800000
	v_cndmask_b32_e64 v135, v64, v135, s[40:41]                // 00000001AD90: D1000087 00A30F40
	v_cmp_lt_u32_e64 s[40:41], v240, v65                       // 00000001AD98: D0C90028 000283F0
	v_add_u32_e32 v240, 64, v240                               // 00000001ADA0: 69E1E0C0
	s_nop 0                                                    // 00000001ADA4: BF800000
	v_cndmask_b32_e64 v136, v64, v136, s[40:41]                // 00000001ADA8: D1000088 00A31140
	v_cmp_lt_u32_e64 s[40:41], v241, v65                       // 00000001ADB0: D0C90028 000283F1
	v_add_u32_e32 v241, 64, v241                               // 00000001ADB8: 69E3E2C0
	s_nop 0                                                    // 00000001ADBC: BF800000
	v_cndmask_b32_e64 v137, v64, v137, s[40:41]                // 00000001ADC0: D1000089 00A31340
	v_cmp_lt_u32_e64 s[40:41], v242, v65                       // 00000001ADC8: D0C90028 000283F2
	v_add_u32_e32 v242, 64, v242                               // 00000001ADD0: 69E5E4C0
	s_nop 0                                                    // 00000001ADD4: BF800000
	v_cndmask_b32_e64 v138, v64, v138, s[40:41]                // 00000001ADD8: D100008A 00A31540
	v_cmp_lt_u32_e64 s[40:41], v243, v65                       // 00000001ADE0: D0C90028 000283F3
	v_add_u32_e32 v243, 64, v243                               // 00000001ADE8: 69E7E6C0
	s_nop 0                                                    // 00000001ADEC: BF800000
	v_cndmask_b32_e64 v139, v64, v139, s[40:41]                // 00000001ADF0: D100008B 00A31740
	v_cmp_lt_u32_e64 s[40:41], v240, v65                       // 00000001ADF8: D0C90028 000283F0
	v_add_u32_e32 v240, 64, v240                               // 00000001AE00: 69E1E0C0
	s_nop 0                                                    // 00000001AE04: BF800000
	v_cndmask_b32_e64 v140, v64, v140, s[40:41]                // 00000001AE08: D100008C 00A31940
	v_cmp_lt_u32_e64 s[40:41], v241, v65                       // 00000001AE10: D0C90028 000283F1
	v_add_u32_e32 v241, 64, v241                               // 00000001AE18: 69E3E2C0
	s_nop 0                                                    // 00000001AE1C: BF800000
	v_cndmask_b32_e64 v141, v64, v141, s[40:41]                // 00000001AE20: D100008D 00A31B40
	v_cmp_lt_u32_e64 s[40:41], v242, v65                       // 00000001AE28: D0C90028 000283F2
	v_add_u32_e32 v242, 64, v242                               // 00000001AE30: 69E5E4C0
	s_nop 0                                                    // 00000001AE34: BF800000
	v_cndmask_b32_e64 v142, v64, v142, s[40:41]                // 00000001AE38: D100008E 00A31D40
	v_cmp_lt_u32_e64 s[40:41], v243, v65                       // 00000001AE40: D0C90028 000283F3
	v_add_u32_e32 v243, 64, v243                               // 00000001AE48: 69E7E6C0
	s_nop 0                                                    // 00000001AE4C: BF800000
	v_cndmask_b32_e64 v143, v64, v143, s[40:41]                // 00000001AE50: D100008F 00A31F40
	v_mov_b32_e32 v48, v128                                    // 00000001AE58: 7E600380
	v_max3_f32 v48, v128, v129, v48                            // 00000001AE5C: D1D30030 04C30380
	v_max3_f32 v48, v130, v131, v48                            // 00000001AE64: D1D30030 04C30782
	v_max3_f32 v48, v132, v133, v48                            // 00000001AE6C: D1D30030 04C30B84
	v_max3_f32 v48, v134, v135, v48                            // 00000001AE74: D1D30030 04C30F86
	v_max3_f32 v48, v136, v137, v48                            // 00000001AE7C: D1D30030 04C31388
	v_max3_f32 v48, v138, v139, v48                            // 00000001AE84: D1D30030 04C3178A
	v_max3_f32 v48, v140, v141, v48                            // 00000001AE8C: D1D30030 04C31B8C
	v_max3_f32 v48, v142, v143, v48                            // 00000001AE94: D1D30030 04C31F8E
	ds_write_b32 v8, v48 offset:16896                          // 00000001AE9C: D81A4200 00003008
	v_mul_f32_e32 v216, v50, v216                              // 00000001AEA4: 0BB1B132
	v_mul_f32_e32 v217, v50, v217                              // 00000001AEA8: 0BB3B332
	v_mul_f32_e32 v218, v50, v218                              // 00000001AEAC: 0BB5B532
	v_mul_f32_e32 v219, v50, v219                              // 00000001AEB0: 0BB7B732
	v_mul_f32_e32 v220, v50, v220                              // 00000001AEB4: 0BB9B932
	v_mul_f32_e32 v221, v50, v221                              // 00000001AEB8: 0BBBBB32
	v_mul_f32_e32 v222, v50, v222                              // 00000001AEBC: 0BBDBD32
	v_mul_f32_e32 v223, v50, v223                              // 00000001AEC0: 0BBFBF32
	s_waitcnt lgkmcnt(0)                                       // 00000001AEC4: BF8CC07F
	s_barrier                                                  // 00000001AEC8: BF8A0000
	ds_read_b32 v64, v7 offset:16896                           // 00000001AECC: D86C4200 40000007
	ds_read_b32 v65, v7 offset:16960                           // 00000001AED4: D86C4240 41000007
	ds_read_b32 v66, v7 offset:17024                           // 00000001AEDC: D86C4280 42000007
	ds_read_b32 v67, v7 offset:17088                           // 00000001AEE4: D86C42C0 43000007
	ds_read_b32 v68, v7 offset:17152                           // 00000001AEEC: D86C4300 44000007
	ds_read_b32 v69, v7 offset:17216                           // 00000001AEF4: D86C4340 45000007
	ds_read_b32 v70, v7 offset:17280                           // 00000001AEFC: D86C4380 46000007
	ds_read_b32 v71, v7 offset:17344                           // 00000001AF04: D86C43C0 47000007
	ds_read_b32 v72, v7 offset:17408                           // 00000001AF0C: D86C4400 48000007
	ds_read_b32 v73, v7 offset:17472                           // 00000001AF14: D86C4440 49000007
	ds_read_b32 v74, v7 offset:17536                           // 00000001AF1C: D86C4480 4A000007
	ds_read_b32 v75, v7 offset:17600                           // 00000001AF24: D86C44C0 4B000007
	ds_read_b32 v76, v7 offset:17664                           // 00000001AF2C: D86C4500 4C000007
	ds_read_b32 v77, v7 offset:17728                           // 00000001AF34: D86C4540 4D000007
	ds_read_b32 v78, v7 offset:17792                           // 00000001AF3C: D86C4580 4E000007
	ds_read_b32 v79, v7 offset:17856                           // 00000001AF44: D86C45C0 4F000007
	v_cvt_f32_i32_e32 v184, v184                               // 00000001AF4C: 7F700BB8
	v_cvt_f32_i32_e32 v185, v185                               // 00000001AF50: 7F720BB9
	v_cvt_f32_i32_e32 v186, v186                               // 00000001AF54: 7F740BBA
	v_cvt_f32_i32_e32 v187, v187                               // 00000001AF58: 7F760BBB
	v_cvt_f32_i32_e32 v188, v188                               // 00000001AF5C: 7F780BBC
	v_cvt_f32_i32_e32 v189, v189                               // 00000001AF60: 7F7A0BBD
	v_cvt_f32_i32_e32 v190, v190                               // 00000001AF64: 7F7C0BBE
	v_cvt_f32_i32_e32 v191, v191                               // 00000001AF68: 7F7E0BBF
	v_mul_f32_e32 v184, v45, v184                              // 00000001AF6C: 0B71712D
	v_mul_f32_e32 v185, v45, v185                              // 00000001AF70: 0B73732D
	v_mul_f32_e32 v186, v45, v186                              // 00000001AF74: 0B75752D
	v_mul_f32_e32 v187, v45, v187                              // 00000001AF78: 0B77772D
	v_mul_f32_e32 v188, v45, v188                              // 00000001AF7C: 0B79792D
	v_mul_f32_e32 v189, v45, v189                              // 00000001AF80: 0B7B7B2D
	v_mul_f32_e32 v190, v45, v190                              // 00000001AF84: 0B7D7D2D
	v_mul_f32_e32 v191, v45, v191                              // 00000001AF88: 0B7F7F2D
	s_waitcnt lgkmcnt(0)                                       // 00000001AF8C: BF8CC07F
	v_max3_f32 v48, v64, v65, v48                              // 00000001AF90: D1D30030 04C28340
	v_max3_f32 v48, v66, v67, v48                              // 00000001AF98: D1D30030 04C28742
	v_max3_f32 v48, v68, v69, v48                              // 00000001AFA0: D1D30030 04C28B44
	v_max3_f32 v48, v70, v71, v48                              // 00000001AFA8: D1D30030 04C28F46
	v_max3_f32 v48, v72, v73, v48                              // 00000001AFB0: D1D30030 04C29348
	v_max3_f32 v48, v74, v75, v48                              // 00000001AFB8: D1D30030 04C2974A
	v_max3_f32 v48, v76, v77, v48                              // 00000001AFC0: D1D30030 04C29B4C
	v_max3_f32 v48, v78, v79, v48                              // 00000001AFC8: D1D30030 04C29F4E
	v_mov_b32_e32 v64, 0xff800000                              // 00000001AFD0: 7E8002FF FF800000
	v_cmp_eq_u32_e64 s[40:41], v64, v12                        // 00000001AFD8: D0CA0028 00021940
	s_nop 1                                                    // 00000001AFE0: BF800001
	v_max_f32_e32 v15, v48, v12                                // 00000001AFE4: 161E1930
	v_mul_f32_e32 v53, s64, v15                                // 00000001AFE8: 0A6A1E40
	v_fma_f32 v128, v128, s64, -v53                            // 00000001AFEC: D1CB0080 84D48180
	v_fma_f32 v129, v129, s64, -v53                            // 00000001AFF4: D1CB0081 84D48181
	v_fma_f32 v130, v130, s64, -v53                            // 00000001AFFC: D1CB0082 84D48182
	v_fma_f32 v131, v131, s64, -v53                            // 00000001B004: D1CB0083 84D48183
	v_fma_f32 v132, v132, s64, -v53                            // 00000001B00C: D1CB0084 84D48184
	v_fma_f32 v133, v133, s64, -v53                            // 00000001B014: D1CB0085 84D48185
	v_fma_f32 v134, v134, s64, -v53                            // 00000001B01C: D1CB0086 84D48186
	v_fma_f32 v135, v135, s64, -v53                            // 00000001B024: D1CB0087 84D48187
	v_fma_f32 v136, v136, s64, -v53                            // 00000001B02C: D1CB0088 84D48188
	v_fma_f32 v137, v137, s64, -v53                            // 00000001B034: D1CB0089 84D48189
	v_fma_f32 v138, v138, s64, -v53                            // 00000001B03C: D1CB008A 84D4818A
	v_fma_f32 v139, v139, s64, -v53                            // 00000001B044: D1CB008B 84D4818B
	v_fma_f32 v140, v140, s64, -v53                            // 00000001B04C: D1CB008C 84D4818C
	v_fma_f32 v141, v141, s64, -v53                            // 00000001B054: D1CB008D 84D4818D
	v_fma_f32 v142, v142, s64, -v53                            // 00000001B05C: D1CB008E 84D4818E
	v_fma_f32 v143, v143, s64, -v53                            // 00000001B064: D1CB008F 84D4818F
	v_exp_f32_e32 v128, v128                                   // 00000001B06C: 7F004180
	v_exp_f32_e32 v129, v129                                   // 00000001B070: 7F024181
	v_exp_f32_e32 v130, v130                                   // 00000001B074: 7F044182
	v_exp_f32_e32 v131, v131                                   // 00000001B078: 7F064183
	v_exp_f32_e32 v132, v132                                   // 00000001B07C: 7F084184
	v_exp_f32_e32 v133, v133                                   // 00000001B080: 7F0A4185
	v_exp_f32_e32 v134, v134                                   // 00000001B084: 7F0C4186
	v_exp_f32_e32 v135, v135                                   // 00000001B088: 7F0E4187
	v_exp_f32_e32 v136, v136                                   // 00000001B08C: 7F104188
	v_exp_f32_e32 v137, v137                                   // 00000001B090: 7F124189
	v_exp_f32_e32 v138, v138                                   // 00000001B094: 7F14418A
	v_exp_f32_e32 v139, v139                                   // 00000001B098: 7F16418B
	v_exp_f32_e32 v140, v140                                   // 00000001B09C: 7F18418C
	v_exp_f32_e32 v141, v141                                   // 00000001B0A0: 7F1A418D
	v_exp_f32_e32 v142, v142                                   // 00000001B0A4: 7F1C418E
	v_exp_f32_e32 v143, v143                                   // 00000001B0A8: 7F1E418F
	v_mul_f32_dpp v240, v252, v128 quad_perm:[0,0,0,0] row_mask:0xf bank_mask:0xf// 00000001B0AC: 0BE100FA FF0000FC
	v_mul_f32_dpp v241, v252, v129 quad_perm:[1,1,1,1] row_mask:0xf bank_mask:0xf// 00000001B0B4: 0BE302FA FF0055FC
	v_mul_f32_dpp v242, v252, v130 quad_perm:[2,2,2,2] row_mask:0xf bank_mask:0xf// 00000001B0BC: 0BE504FA FF00AAFC
	v_mul_f32_dpp v243, v252, v131 quad_perm:[3,3,3,3] row_mask:0xf bank_mask:0xf// 00000001B0C4: 0BE706FA FF00FFFC
	v_mul_f32_dpp v244, v253, v132 quad_perm:[0,0,0,0] row_mask:0xf bank_mask:0xf// 00000001B0CC: 0BE908FA FF0000FD
	v_mul_f32_dpp v245, v253, v133 quad_perm:[1,1,1,1] row_mask:0xf bank_mask:0xf// 00000001B0D4: 0BEB0AFA FF0055FD
	v_mul_f32_dpp v246, v253, v134 quad_perm:[2,2,2,2] row_mask:0xf bank_mask:0xf// 00000001B0DC: 0BED0CFA FF00AAFD
	v_mul_f32_dpp v247, v253, v135 quad_perm:[3,3,3,3] row_mask:0xf bank_mask:0xf// 00000001B0E4: 0BEF0EFA FF00FFFD
	v_mul_f32_dpp v248, v254, v136 quad_perm:[0,0,0,0] row_mask:0xf bank_mask:0xf// 00000001B0EC: 0BF110FA FF0000FE
	v_mul_f32_dpp v249, v254, v137 quad_perm:[1,1,1,1] row_mask:0xf bank_mask:0xf// 00000001B0F4: 0BF312FA FF0055FE
	v_mul_f32_dpp v250, v254, v138 quad_perm:[2,2,2,2] row_mask:0xf bank_mask:0xf// 00000001B0FC: 0BF514FA FF00AAFE
	v_mul_f32_dpp v251, v254, v139 quad_perm:[3,3,3,3] row_mask:0xf bank_mask:0xf// 00000001B104: 0BF716FA FF00FFFE
	v_mul_f32_dpp v252, v255, v140 quad_perm:[0,0,0,0] row_mask:0xf bank_mask:0xf// 00000001B10C: 0BF918FA FF0000FF
	v_mul_f32_dpp v253, v255, v141 quad_perm:[1,1,1,1] row_mask:0xf bank_mask:0xf// 00000001B114: 0BFB1AFA FF0055FF
	v_mul_f32_dpp v254, v255, v142 quad_perm:[2,2,2,2] row_mask:0xf bank_mask:0xf// 00000001B11C: 0BFD1CFA FF00AAFF
	v_mul_f32_dpp v255, v255, v143 quad_perm:[3,3,3,3] row_mask:0xf bank_mask:0xf// 00000001B124: 0BFF1EFA FF00FFFF
	v_mov_b32_e32 v48, 0x358637bd                              // 00000001B12C: 7E6002FF 358637BD
	v_max3_f32 v48, |v240|, |v241|, v48                        // 00000001B134: D1D30330 04C3E3F0
	v_max3_f32 v48, |v242|, |v243|, v48                        // 00000001B13C: D1D30330 04C3E7F2
	v_max3_f32 v48, |v244|, |v245|, v48                        // 00000001B144: D1D30330 04C3EBF4
	v_max3_f32 v48, |v246|, |v247|, v48                        // 00000001B14C: D1D30330 04C3EFF6
	v_max3_f32 v48, |v248|, |v249|, v48                        // 00000001B154: D1D30330 04C3F3F8
	v_max3_f32 v48, |v250|, |v251|, v48                        // 00000001B15C: D1D30330 04C3F7FA
	v_max3_f32 v48, |v252|, |v253|, v48                        // 00000001B164: D1D30330 04C3FBFC
	v_max3_f32 v48, |v254|, |v255|, v48                        // 00000001B16C: D1D30330 04C3FFFE
	ds_write_b32 v8, v48 offset:20992                          // 00000001B174: D81A5200 00003008
	v_sub_f32_e32 v50, v12, v15                                // 00000001B17C: 04641F0C
	v_cndmask_b32_e64 v50, v50, 0, s[40:41]                    // 00000001B180: D1000032 00A10132
	v_mov_b32_e32 v12, v15                                     // 00000001B188: 7E18030F
	v_mul_f32_e32 v50, s64, v50                                // 00000001B18C: 0A646440
	v_exp_f32_e32 v50, v50                                     // 00000001B190: 7E644132
	s_waitcnt lgkmcnt(0)                                       // 00000001B194: BF8CC07F
	s_barrier                                                  // 00000001B198: BF8A0000
	ds_read_b32 v64, v7 offset:20992                           // 00000001B19C: D86C5200 40000007
	ds_read_b32 v65, v7 offset:21056                           // 00000001B1A4: D86C5240 41000007
	ds_read_b32 v66, v7 offset:21120                           // 00000001B1AC: D86C5280 42000007
	ds_read_b32 v67, v7 offset:21184                           // 00000001B1B4: D86C52C0 43000007
	ds_read_b32 v68, v7 offset:21248                           // 00000001B1BC: D86C5300 44000007
	ds_read_b32 v69, v7 offset:21312                           // 00000001B1C4: D86C5340 45000007
	ds_read_b32 v70, v7 offset:21376                           // 00000001B1CC: D86C5380 46000007
	ds_read_b32 v71, v7 offset:21440                           // 00000001B1D4: D86C53C0 47000007
	ds_read_b32 v72, v7 offset:21504                           // 00000001B1DC: D86C5400 48000007
	ds_read_b32 v73, v7 offset:21568                           // 00000001B1E4: D86C5440 49000007
	ds_read_b32 v74, v7 offset:21632                           // 00000001B1EC: D86C5480 4A000007
	ds_read_b32 v75, v7 offset:21696                           // 00000001B1F4: D86C54C0 4B000007
	ds_read_b32 v76, v7 offset:21760                           // 00000001B1FC: D86C5500 4C000007
	ds_read_b32 v77, v7 offset:21824                           // 00000001B204: D86C5540 4D000007
	ds_read_b32 v78, v7 offset:21888                           // 00000001B20C: D86C5580 4E000007
	ds_read_b32 v79, v7 offset:21952                           // 00000001B214: D86C55C0 4F000007
	v_mul_f32_e32 v39, v50, v39                                // 00000001B21C: 0A4E4F32
	v_mov_b32_e32 v15, v128                                    // 00000001B220: 7E1E0380
	v_add_f32_e32 v15, v129, v15                               // 00000001B224: 021E1F81
	v_add_f32_e32 v15, v130, v15                               // 00000001B228: 021E1F82
	v_add_f32_e32 v15, v131, v15                               // 00000001B22C: 021E1F83
	v_add_f32_e32 v15, v132, v15                               // 00000001B230: 021E1F84
	v_add_f32_e32 v15, v133, v15                               // 00000001B234: 021E1F85
	v_add_f32_e32 v15, v134, v15                               // 00000001B238: 021E1F86
	v_add_f32_e32 v15, v135, v15                               // 00000001B23C: 021E1F87
	v_add_f32_e32 v15, v136, v15                               // 00000001B240: 021E1F88
	v_add_f32_e32 v15, v137, v15                               // 00000001B244: 021E1F89
	v_add_f32_e32 v15, v138, v15                               // 00000001B248: 021E1F8A
	v_add_f32_e32 v15, v139, v15                               // 00000001B24C: 021E1F8B
	v_add_f32_e32 v15, v140, v15                               // 00000001B250: 021E1F8C
	v_add_f32_e32 v15, v141, v15                               // 00000001B254: 021E1F8D
	v_add_f32_e32 v15, v142, v15                               // 00000001B258: 021E1F8E
	v_add_f32_e32 v15, v143, v15                               // 00000001B25C: 021E1F8F
	v_add_f32_e32 v39, v15, v39                                // 00000001B260: 024E4F0F
	s_waitcnt lgkmcnt(0)                                       // 00000001B264: BF8CC07F
	v_max3_f32 v48, |v64|, |v65|, v48                          // 00000001B268: D1D30330 04C28340
	v_max3_f32 v48, |v66|, |v67|, v48                          // 00000001B270: D1D30330 04C28742
	v_max3_f32 v48, |v68|, |v69|, v48                          // 00000001B278: D1D30330 04C28B44
	v_max3_f32 v48, |v70|, |v71|, v48                          // 00000001B280: D1D30330 04C28F46
	v_max3_f32 v48, |v72|, |v73|, v48                          // 00000001B288: D1D30330 04C29348
	v_max3_f32 v48, |v74|, |v75|, v48                          // 00000001B290: D1D30330 04C2974A
	v_max3_f32 v48, |v76|, |v77|, v48                          // 00000001B298: D1D30330 04C29B4C
	v_max3_f32 v48, |v78|, |v79|, v48                          // 00000001B2A0: D1D30330 04C29F4E
	s_nop 2                                                    // 00000001B2A8: BF800002
	v_rcp_f32_e32 v48, v48                                     // 00000001B2AC: 7E604530
	s_nop 1                                                    // 00000001B2B0: BF800001
	v_mul_f32_e32 v48, 0x42fe0000, v48                         // 00000001B2B4: 0A6060FF 42FE0000
	v_mul_f32_e32 v128, v48, v240                              // 00000001B2BC: 0B01E130
	v_mul_f32_e32 v129, v48, v241                              // 00000001B2C0: 0B03E330
	v_mul_f32_e32 v130, v48, v242                              // 00000001B2C4: 0B05E530
	v_mul_f32_e32 v131, v48, v243                              // 00000001B2C8: 0B07E730
	v_mul_f32_e32 v132, v48, v244                              // 00000001B2CC: 0B09E930
	v_mul_f32_e32 v133, v48, v245                              // 00000001B2D0: 0B0BEB30
	v_mul_f32_e32 v134, v48, v246                              // 00000001B2D4: 0B0DED30
	v_mul_f32_e32 v135, v48, v247                              // 00000001B2D8: 0B0FEF30
	v_mul_f32_e32 v136, v48, v248                              // 00000001B2DC: 0B11F130
	v_mul_f32_e32 v137, v48, v249                              // 00000001B2E0: 0B13F330
	v_mul_f32_e32 v138, v48, v250                              // 00000001B2E4: 0B15F530
	v_mul_f32_e32 v139, v48, v251                              // 00000001B2E8: 0B17F730
	v_mul_f32_e32 v140, v48, v252                              // 00000001B2EC: 0B19F930
	v_mul_f32_e32 v141, v48, v253                              // 00000001B2F0: 0B1BFB30
	v_mul_f32_e32 v142, v48, v254                              // 00000001B2F4: 0B1DFD30
	v_mul_f32_e32 v143, v48, v255                              // 00000001B2F8: 0B1FFF30
	v_cvt_i32_f32_e32 v128, v128                               // 00000001B2FC: 7F001180
	v_cvt_i32_f32_e32 v129, v129                               // 00000001B300: 7F021181
	v_cvt_i32_f32_e32 v130, v130                               // 00000001B304: 7F041182
	v_cvt_i32_f32_e32 v131, v131                               // 00000001B308: 7F061183
	v_cvt_i32_f32_e32 v132, v132                               // 00000001B30C: 7F081184
	v_cvt_i32_f32_e32 v133, v133                               // 00000001B310: 7F0A1185
	v_cvt_i32_f32_e32 v134, v134                               // 00000001B314: 7F0C1186
	v_cvt_i32_f32_e32 v135, v135                               // 00000001B318: 7F0E1187
	v_cvt_i32_f32_e32 v136, v136                               // 00000001B31C: 7F101188
	v_cvt_i32_f32_e32 v137, v137                               // 00000001B320: 7F121189
	v_cvt_i32_f32_e32 v138, v138                               // 00000001B324: 7F14118A
	v_cvt_i32_f32_e32 v139, v139                               // 00000001B328: 7F16118B
	v_cvt_i32_f32_e32 v140, v140                               // 00000001B32C: 7F18118C
	v_cvt_i32_f32_e32 v141, v141                               // 00000001B330: 7F1A118D
	v_cvt_i32_f32_e32 v142, v142                               // 00000001B334: 7F1C118E
	v_cvt_i32_f32_e32 v143, v143                               // 00000001B338: 7F1E118F
	v_perm_b32 v128, v129, v128, s53                           // 00000001B33C: D1ED0080 00D70181
	v_perm_b32 v128, v130, v128, s54                           // 00000001B344: D1ED0080 00DB0182
	v_perm_b32 v128, v131, v128, s55                           // 00000001B34C: D1ED0080 00DF0183
	v_perm_b32 v129, v133, v132, s53                           // 00000001B354: D1ED0081 00D70985
	v_perm_b32 v129, v134, v129, s54                           // 00000001B35C: D1ED0081 00DB0386
	v_perm_b32 v129, v135, v129, s55                           // 00000001B364: D1ED0081 00DF0387
	v_perm_b32 v130, v137, v136, s53                           // 00000001B36C: D1ED0082 00D71189
	v_perm_b32 v130, v138, v130, s54                           // 00000001B374: D1ED0082 00DB058A
	v_perm_b32 v130, v139, v130, s55                           // 00000001B37C: D1ED0082 00DF058B
	v_perm_b32 v131, v141, v140, s53                           // 00000001B384: D1ED0083 00D7198D
	v_perm_b32 v131, v142, v131, s54                           // 00000001B38C: D1ED0083 00DB078E
	v_perm_b32 v131, v143, v131, s55                           // 00000001B394: D1ED0083 00DF078F
	ds_write_b32 v10, v128 offset:29184                        // 00000001B39C: D81A7200 0000800A
	ds_write_b32 v10, v129 offset:30208                        // 00000001B3A4: D81A7600 0000810A
	ds_write_b32 v10, v130 offset:31232                        // 00000001B3AC: D81A7A00 0000820A
	ds_write_b32 v10, v131 offset:32256                        // 00000001B3B4: D81A7E00 0000830A
	v_add_f32_e32 v216, v216, v184                             // 00000001B3BC: 03B171D8
	v_add_f32_e32 v217, v217, v185                             // 00000001B3C0: 03B373D9
	v_add_f32_e32 v218, v218, v186                             // 00000001B3C4: 03B575DA
	v_add_f32_e32 v219, v219, v187                             // 00000001B3C8: 03B777DB
	v_add_f32_e32 v220, v220, v188                             // 00000001B3CC: 03B979DC
	v_add_f32_e32 v221, v221, v189                             // 00000001B3D0: 03BB7BDD
	v_add_f32_e32 v222, v222, v190                             // 00000001B3D4: 03BD7DDE
	v_add_f32_e32 v223, v223, v191                             // 00000001B3D8: 03BF7FDF
	v_rcp_f32_e32 v45, v48                                     // 00000001B3DC: 7E5A4530
	s_waitcnt lgkmcnt(0)                                       // 00000001B3E0: BF8CC07F
	s_barrier                                                  // 00000001B3E4: BF8A0000
	ds_read_b64 v[128:129], v9 offset:29184                    // 00000001B3E8: D8EC7200 80000009
	ds_read_b64 v[130:131], v9 offset:29312                    // 00000001B3F0: D8EC7280 82000009
	ds_read_b64 v[132:133], v9 offset:30208                    // 00000001B3F8: D8EC7600 84000009
	ds_read_b64 v[134:135], v9 offset:30336                    // 00000001B400: D8EC7680 86000009
	ds_read_b64 v[136:137], v9 offset:31232                    // 00000001B408: D8EC7A00 88000009
	ds_read_b64 v[138:139], v9 offset:31360                    // 00000001B410: D8EC7A80 8A000009
	ds_read_b64 v[140:141], v9 offset:32256                    // 00000001B418: D8EC7E00 8C000009
	ds_read_b64 v[142:143], v9 offset:32384                    // 00000001B420: D8EC7E80 8E000009
	v_mov_b32_dpp v64, v42 row_shr:4 row_mask:0xf bank_mask:0xf// 00000001B428: 7E8002FA FF01142A
	v_mov_b32_dpp v65, v42 row_shl:4 row_mask:0xf bank_mask:0xf// 00000001B430: 7E8202FA FF01042A
	v_cndmask_b32_e64 v248, v42, v64, s[44:45]                 // 00000001B438: D10000F8 00B2812A
	v_cndmask_b32_e64 v249, v65, v42, s[44:45]                 // 00000001B440: D10000F9 00B25541
	v_mov_b32_dpp v64, v248 row_shr:8 row_mask:0xf bank_mask:0xf// 00000001B448: 7E8002FA FF0118F8
	v_mov_b32_dpp v65, v248 row_shl:8 row_mask:0xf bank_mask:0xf// 00000001B450: 7E8202FA FF0108F8
	v_mov_b32_dpp v66, v249 row_shr:8 row_mask:0xf bank_mask:0xf// 00000001B458: 7E8402FA FF0118F9
	v_mov_b32_dpp v67, v249 row_shl:8 row_mask:0xf bank_mask:0xf// 00000001B460: 7E8602FA FF0108F9
	v_mov_b32_e32 v68, v248                                    // 00000001B468: 7E8803F8
	v_mov_b32_e32 v69, v249                                    // 00000001B46C: 7E8A03F9
	v_cndmask_b32_e64 v248, v68, v64, s[42:43]                 // 00000001B470: D10000F8 00AA8144
	v_cndmask_b32_e64 v250, v68, v65, s[78:79]                 // 00000001B478: D10000FA 013A8344
	v_cndmask_b32_e64 v249, v69, v66, s[42:43]                 // 00000001B480: D10000F9 00AA8545
	v_cndmask_b32_e64 v251, v69, v67, s[78:79]                 // 00000001B488: D10000FB 013A8745
	v_mov_b32_dpp v64, v57 row_shr:4 row_mask:0xf bank_mask:0xf// 00000001B490: 7E8002FA FF011439
	v_mov_b32_dpp v65, v57 row_shl:4 row_mask:0xf bank_mask:0xf// 00000001B498: 7E8202FA FF010439
	v_cndmask_b32_e64 v252, v57, v64, s[44:45]                 // 00000001B4A0: D10000FC 00B28139
	v_cndmask_b32_e64 v253, v65, v57, s[44:45]                 // 00000001B4A8: D10000FD 00B27341
	v_mov_b32_dpp v64, v252 row_shr:8 row_mask:0xf bank_mask:0xf// 00000001B4B0: 7E8002FA FF0118FC
	v_mov_b32_dpp v65, v252 row_shl:8 row_mask:0xf bank_mask:0xf// 00000001B4B8: 7E8202FA FF0108FC
	v_mov_b32_dpp v66, v253 row_shr:8 row_mask:0xf bank_mask:0xf// 00000001B4C0: 7E8402FA FF0118FD
	v_mov_b32_dpp v67, v253 row_shl:8 row_mask:0xf bank_mask:0xf// 00000001B4C8: 7E8602FA FF0108FD
	v_mov_b32_e32 v68, v252                                    // 00000001B4D0: 7E8803FC
	v_mov_b32_e32 v69, v253                                    // 00000001B4D4: 7E8A03FD
	v_cndmask_b32_e64 v252, v68, v64, s[42:43]                 // 00000001B4D8: D10000FC 00AA8144
	v_cndmask_b32_e64 v254, v68, v65, s[78:79]                 // 00000001B4E0: D10000FE 013A8344
	v_cndmask_b32_e64 v253, v69, v66, s[42:43]                 // 00000001B4E8: D10000FD 00AA8545
	v_cndmask_b32_e64 v255, v69, v67, s[78:79]                 // 00000001B4F0: D10000FF 013A8745
	v_cvt_f32_i32_e32 v144, v144                               // 00000001B4F8: 7F200B90
	v_cvt_f32_i32_e32 v145, v145                               // 00000001B4FC: 7F220B91
	v_cvt_f32_i32_e32 v146, v146                               // 00000001B500: 7F240B92
	v_cvt_f32_i32_e32 v147, v147                               // 00000001B504: 7F260B93
	v_cvt_f32_i32_e32 v148, v148                               // 00000001B508: 7F280B94
	v_cvt_f32_i32_e32 v149, v149                               // 00000001B50C: 7F2A0B95
	v_cvt_f32_i32_e32 v150, v150                               // 00000001B510: 7F2C0B96
	v_cvt_f32_i32_e32 v151, v151                               // 00000001B514: 7F2E0B97
	v_cvt_f32_i32_e32 v152, v152                               // 00000001B518: 7F300B98
	v_cvt_f32_i32_e32 v153, v153                               // 00000001B51C: 7F320B99
	v_cvt_f32_i32_e32 v154, v154                               // 00000001B520: 7F340B9A
	v_cvt_f32_i32_e32 v155, v155                               // 00000001B524: 7F360B9B
	v_cvt_f32_i32_e32 v156, v156                               // 00000001B528: 7F380B9C
	v_cvt_f32_i32_e32 v157, v157                               // 00000001B52C: 7F3A0B9D
	v_cvt_f32_i32_e32 v158, v158                               // 00000001B530: 7F3C0B9E
	v_cvt_f32_i32_e32 v159, v159                               // 00000001B534: 7F3E0B9F
	v_mul_f32_e32 v144, v20, v144                              // 00000001B538: 0B212114
	v_mul_f32_e32 v145, v20, v145                              // 00000001B53C: 0B232314
	v_mul_f32_e32 v146, v20, v146                              // 00000001B540: 0B252514
	v_mul_f32_e32 v147, v20, v147                              // 00000001B544: 0B272714
	v_mul_f32_e32 v148, v20, v148                              // 00000001B548: 0B292914
	v_mul_f32_e32 v149, v20, v149                              // 00000001B54C: 0B2B2B14
	v_mul_f32_e32 v150, v20, v150                              // 00000001B550: 0B2D2D14
	v_mul_f32_e32 v151, v20, v151                              // 00000001B554: 0B2F2F14
	v_mul_f32_e32 v152, v20, v152                              // 00000001B558: 0B313114
	v_mul_f32_e32 v153, v20, v153                              // 00000001B55C: 0B333314
	v_mul_f32_e32 v154, v20, v154                              // 00000001B560: 0B353514
	v_mul_f32_e32 v155, v20, v155                              // 00000001B564: 0B373714
	v_mul_f32_e32 v156, v20, v156                              // 00000001B568: 0B393914
	v_mul_f32_e32 v157, v20, v157                              // 00000001B56C: 0B3B3B14
	v_mul_f32_e32 v158, v20, v158                              // 00000001B570: 0B3D3D14
	v_mul_f32_e32 v159, v20, v159                              // 00000001B574: 0B3F3F14
	v_mul_f32_dpp v144, v248, v144 quad_perm:[0,0,0,0] row_mask:0xf bank_mask:0xf// 00000001B578: 0B2120FA FF0000F8
	v_mul_f32_dpp v145, v248, v145 quad_perm:[1,1,1,1] row_mask:0xf bank_mask:0xf// 00000001B580: 0B2322FA FF0055F8
	v_mul_f32_dpp v146, v248, v146 quad_perm:[2,2,2,2] row_mask:0xf bank_mask:0xf// 00000001B588: 0B2524FA FF00AAF8
	v_mul_f32_dpp v147, v248, v147 quad_perm:[3,3,3,3] row_mask:0xf bank_mask:0xf// 00000001B590: 0B2726FA FF00FFF8
	v_mul_f32_dpp v148, v249, v148 quad_perm:[0,0,0,0] row_mask:0xf bank_mask:0xf// 00000001B598: 0B2928FA FF0000F9
	v_mul_f32_dpp v149, v249, v149 quad_perm:[1,1,1,1] row_mask:0xf bank_mask:0xf// 00000001B5A0: 0B2B2AFA FF0055F9
	v_mul_f32_dpp v150, v249, v150 quad_perm:[2,2,2,2] row_mask:0xf bank_mask:0xf// 00000001B5A8: 0B2D2CFA FF00AAF9
	v_mul_f32_dpp v151, v249, v151 quad_perm:[3,3,3,3] row_mask:0xf bank_mask:0xf// 00000001B5B0: 0B2F2EFA FF00FFF9
	v_mul_f32_dpp v152, v250, v152 quad_perm:[0,0,0,0] row_mask:0xf bank_mask:0xf// 00000001B5B8: 0B3130FA FF0000FA
	v_mul_f32_dpp v153, v250, v153 quad_perm:[1,1,1,1] row_mask:0xf bank_mask:0xf// 00000001B5C0: 0B3332FA FF0055FA
	v_mul_f32_dpp v154, v250, v154 quad_perm:[2,2,2,2] row_mask:0xf bank_mask:0xf// 00000001B5C8: 0B3534FA FF00AAFA
	v_mul_f32_dpp v155, v250, v155 quad_perm:[3,3,3,3] row_mask:0xf bank_mask:0xf// 00000001B5D0: 0B3736FA FF00FFFA
	v_mul_f32_dpp v156, v251, v156 quad_perm:[0,0,0,0] row_mask:0xf bank_mask:0xf// 00000001B5D8: 0B3938FA FF0000FB
	v_mul_f32_dpp v157, v251, v157 quad_perm:[1,1,1,1] row_mask:0xf bank_mask:0xf// 00000001B5E0: 0B3B3AFA FF0055FB
	v_mul_f32_dpp v158, v251, v158 quad_perm:[2,2,2,2] row_mask:0xf bank_mask:0xf// 00000001B5E8: 0B3D3CFA FF00AAFB
	v_mul_f32_dpp v159, v251, v159 quad_perm:[3,3,3,3] row_mask:0xf bank_mask:0xf// 00000001B5F0: 0B3F3EFA FF00FFFB
	s_cmp_le_i32 s90, s89                                      // 00000001B5F8: BF05595A
	s_cbranch_scc1 label_6571                                  // 00000001B5FC: BF850071
	v_mov_b32_e32 v66, 0xff800000                              // 00000001B600: 7E8402FF FF800000
	s_mov_b32 s60, s90                                         // 00000001B608: BEBC005A
	s_add_u32 s61, s89, 0xff                                   // 00000001B60C: 803DFF59 000000FF
	v_mov_b32_e32 v64, s61                                     // 00000001B614: 7E80023D
	v_lshrrev_b32_e32 v240, 4, v0                              // 00000001B618: 21E00084
	v_mul_i32_i24_e32 v240, 4, v240                            // 00000001B61C: 0DE1E084
	v_add_u32_e32 v240, s60, v240                              // 00000001B620: 69E1E03C
	s_mov_b32 s61, 2                                           // 00000001B624: BEBD0082
	s_mul_i32 s60, 16, s7                                      // 00000001B628: 923C0790
	v_sub_u32_e64 v240, v240, s61                              // 00000001B62C: D13500F0 00007BF0
	v_add_u32_e32 v240, s60, v240                              // 00000001B634: 69E1E03C
	v_add_u32_e32 v241, 1, v240                                // 00000001B638: 69E3E081
	v_add_u32_e32 v242, 2, v240                                // 00000001B63C: 69E5E082
	v_add_u32_e32 v243, 3, v240                                // 00000001B640: 69E7E083
	v_cmp_le_u32_e64 s[40:41], v240, v64                       // 00000001B644: D0CB0028 000281F0
	v_add_u32_e32 v240, 64, v240                               // 00000001B64C: 69E1E0C0
	s_nop 0                                                    // 00000001B650: BF800000
	v_cndmask_b32_e64 v144, v66, v144, s[40:41]                // 00000001B654: D1000090 00A32142
	v_cmp_le_u32_e64 s[40:41], v241, v64                       // 00000001B65C: D0CB0028 000281F1
	v_add_u32_e32 v241, 64, v241                               // 00000001B664: 69E3E2C0
	s_nop 0                                                    // 00000001B668: BF800000
	v_cndmask_b32_e64 v145, v66, v145, s[40:41]                // 00000001B66C: D1000091 00A32342
	v_cmp_le_u32_e64 s[40:41], v242, v64                       // 00000001B674: D0CB0028 000281F2
	v_add_u32_e32 v242, 64, v242                               // 00000001B67C: 69E5E4C0
	s_nop 0                                                    // 00000001B680: BF800000
	v_cndmask_b32_e64 v146, v66, v146, s[40:41]                // 00000001B684: D1000092 00A32542
	v_cmp_le_u32_e64 s[40:41], v243, v64                       // 00000001B68C: D0CB0028 000281F3
	v_add_u32_e32 v243, 64, v243                               // 00000001B694: 69E7E6C0
	s_nop 0                                                    // 00000001B698: BF800000
	v_cndmask_b32_e64 v147, v66, v147, s[40:41]                // 00000001B69C: D1000093 00A32742
	v_cmp_le_u32_e64 s[40:41], v240, v64                       // 00000001B6A4: D0CB0028 000281F0
	v_add_u32_e32 v240, 64, v240                               // 00000001B6AC: 69E1E0C0
	s_nop 0                                                    // 00000001B6B0: BF800000
	v_cndmask_b32_e64 v148, v66, v148, s[40:41]                // 00000001B6B4: D1000094 00A32942
	v_cmp_le_u32_e64 s[40:41], v241, v64                       // 00000001B6BC: D0CB0028 000281F1
	v_add_u32_e32 v241, 64, v241                               // 00000001B6C4: 69E3E2C0
	s_nop 0                                                    // 00000001B6C8: BF800000
	v_cndmask_b32_e64 v149, v66, v149, s[40:41]                // 00000001B6CC: D1000095 00A32B42
	v_cmp_le_u32_e64 s[40:41], v242, v64                       // 00000001B6D4: D0CB0028 000281F2
	v_add_u32_e32 v242, 64, v242                               // 00000001B6DC: 69E5E4C0
	s_nop 0                                                    // 00000001B6E0: BF800000
	v_cndmask_b32_e64 v150, v66, v150, s[40:41]                // 00000001B6E4: D1000096 00A32D42
	v_cmp_le_u32_e64 s[40:41], v243, v64                       // 00000001B6EC: D0CB0028 000281F3
	v_add_u32_e32 v243, 64, v243                               // 00000001B6F4: 69E7E6C0
	s_nop 0                                                    // 00000001B6F8: BF800000
	v_cndmask_b32_e64 v151, v66, v151, s[40:41]                // 00000001B6FC: D1000097 00A32F42
	v_cmp_le_u32_e64 s[40:41], v240, v64                       // 00000001B704: D0CB0028 000281F0
	v_add_u32_e32 v240, 64, v240                               // 00000001B70C: 69E1E0C0
	s_nop 0                                                    // 00000001B710: BF800000
	v_cndmask_b32_e64 v152, v66, v152, s[40:41]                // 00000001B714: D1000098 00A33142
	v_cmp_le_u32_e64 s[40:41], v241, v64                       // 00000001B71C: D0CB0028 000281F1
	v_add_u32_e32 v241, 64, v241                               // 00000001B724: 69E3E2C0
	s_nop 0                                                    // 00000001B728: BF800000
	v_cndmask_b32_e64 v153, v66, v153, s[40:41]                // 00000001B72C: D1000099 00A33342
	v_cmp_le_u32_e64 s[40:41], v242, v64                       // 00000001B734: D0CB0028 000281F2
	v_add_u32_e32 v242, 64, v242                               // 00000001B73C: 69E5E4C0
	s_nop 0                                                    // 00000001B740: BF800000
	v_cndmask_b32_e64 v154, v66, v154, s[40:41]                // 00000001B744: D100009A 00A33542
	v_cmp_le_u32_e64 s[40:41], v243, v64                       // 00000001B74C: D0CB0028 000281F3
	v_add_u32_e32 v243, 64, v243                               // 00000001B754: 69E7E6C0
	s_nop 0                                                    // 00000001B758: BF800000
	v_cndmask_b32_e64 v155, v66, v155, s[40:41]                // 00000001B75C: D100009B 00A33742
	v_cmp_le_u32_e64 s[40:41], v240, v64                       // 00000001B764: D0CB0028 000281F0
	v_add_u32_e32 v240, 64, v240                               // 00000001B76C: 69E1E0C0
	s_nop 0                                                    // 00000001B770: BF800000
	v_cndmask_b32_e64 v156, v66, v156, s[40:41]                // 00000001B774: D100009C 00A33942
	v_cmp_le_u32_e64 s[40:41], v241, v64                       // 00000001B77C: D0CB0028 000281F1
	v_add_u32_e32 v241, 64, v241                               // 00000001B784: 69E3E2C0
	s_nop 0                                                    // 00000001B788: BF800000
	v_cndmask_b32_e64 v157, v66, v157, s[40:41]                // 00000001B78C: D100009D 00A33B42
	v_cmp_le_u32_e64 s[40:41], v242, v64                       // 00000001B794: D0CB0028 000281F2
	v_add_u32_e32 v242, 64, v242                               // 00000001B79C: 69E5E4C0
	s_nop 0                                                    // 00000001B7A0: BF800000
	v_cndmask_b32_e64 v158, v66, v158, s[40:41]                // 00000001B7A4: D100009E 00A33D42
	v_cmp_le_u32_e64 s[40:41], v243, v64                       // 00000001B7AC: D0CB0028 000281F3
	v_add_u32_e32 v243, 64, v243                               // 00000001B7B4: 69E7E6C0
	s_nop 0                                                    // 00000001B7B8: BF800000
	v_cndmask_b32_e64 v159, v66, v159, s[40:41]                // 00000001B7BC: D100009F 00A33F42

000000000001b7c4 <label_6571>:
	s_add_u32 s90, s91, s90                                    // 00000001B7C4: 805A5A5B
	s_and_b32 s60, s72, 0xff                                   // 00000001B7C8: 863CFF48 000000FF
	v_mov_b32_e32 v65, s60                                     // 00000001B7D0: 7E82023C
	v_lshrrev_b32_e32 v240, 4, v0                              // 00000001B7D4: 21E00084
	v_mul_i32_i24_e32 v240, 4, v240                            // 00000001B7D8: 0DE1E084
	s_mul_i32 s60, s7, 16                                      // 00000001B7DC: 923C9007
	v_add_u32_e32 v240, s60, v240                              // 00000001B7E0: 69E1E03C
	v_add_u32_e32 v241, 1, v240                                // 00000001B7E4: 69E3E081
	v_add_u32_e32 v242, 2, v240                                // 00000001B7E8: 69E5E082
	v_add_u32_e32 v243, 3, v240                                // 00000001B7EC: 69E7E083
	v_mov_b32_e32 v64, 0xff800000                              // 00000001B7F0: 7E8002FF FF800000
	v_cmp_lt_u32_e64 s[40:41], v240, v65                       // 00000001B7F8: D0C90028 000283F0
	v_add_u32_e32 v240, 64, v240                               // 00000001B800: 69E1E0C0
	s_nop 0                                                    // 00000001B804: BF800000
	v_cndmask_b32_e64 v144, v64, v144, s[40:41]                // 00000001B808: D1000090 00A32140
	v_cmp_lt_u32_e64 s[40:41], v241, v65                       // 00000001B810: D0C90028 000283F1
	v_add_u32_e32 v241, 64, v241                               // 00000001B818: 69E3E2C0
	s_nop 0                                                    // 00000001B81C: BF800000
	v_cndmask_b32_e64 v145, v64, v145, s[40:41]                // 00000001B820: D1000091 00A32340
	v_cmp_lt_u32_e64 s[40:41], v242, v65                       // 00000001B828: D0C90028 000283F2
	v_add_u32_e32 v242, 64, v242                               // 00000001B830: 69E5E4C0
	s_nop 0                                                    // 00000001B834: BF800000
	v_cndmask_b32_e64 v146, v64, v146, s[40:41]                // 00000001B838: D1000092 00A32540
	v_cmp_lt_u32_e64 s[40:41], v243, v65                       // 00000001B840: D0C90028 000283F3
	v_add_u32_e32 v243, 64, v243                               // 00000001B848: 69E7E6C0
	s_nop 0                                                    // 00000001B84C: BF800000
	v_cndmask_b32_e64 v147, v64, v147, s[40:41]                // 00000001B850: D1000093 00A32740
	v_cmp_lt_u32_e64 s[40:41], v240, v65                       // 00000001B858: D0C90028 000283F0
	v_add_u32_e32 v240, 64, v240                               // 00000001B860: 69E1E0C0
	s_nop 0                                                    // 00000001B864: BF800000
	v_cndmask_b32_e64 v148, v64, v148, s[40:41]                // 00000001B868: D1000094 00A32940
	v_cmp_lt_u32_e64 s[40:41], v241, v65                       // 00000001B870: D0C90028 000283F1
	v_add_u32_e32 v241, 64, v241                               // 00000001B878: 69E3E2C0
	s_nop 0                                                    // 00000001B87C: BF800000
	v_cndmask_b32_e64 v149, v64, v149, s[40:41]                // 00000001B880: D1000095 00A32B40
	v_cmp_lt_u32_e64 s[40:41], v242, v65                       // 00000001B888: D0C90028 000283F2
	v_add_u32_e32 v242, 64, v242                               // 00000001B890: 69E5E4C0
	s_nop 0                                                    // 00000001B894: BF800000
	v_cndmask_b32_e64 v150, v64, v150, s[40:41]                // 00000001B898: D1000096 00A32D40
	v_cmp_lt_u32_e64 s[40:41], v243, v65                       // 00000001B8A0: D0C90028 000283F3
	v_add_u32_e32 v243, 64, v243                               // 00000001B8A8: 69E7E6C0
	s_nop 0                                                    // 00000001B8AC: BF800000
	v_cndmask_b32_e64 v151, v64, v151, s[40:41]                // 00000001B8B0: D1000097 00A32F40
	v_cmp_lt_u32_e64 s[40:41], v240, v65                       // 00000001B8B8: D0C90028 000283F0
	v_add_u32_e32 v240, 64, v240                               // 00000001B8C0: 69E1E0C0
	s_nop 0                                                    // 00000001B8C4: BF800000
	v_cndmask_b32_e64 v152, v64, v152, s[40:41]                // 00000001B8C8: D1000098 00A33140
	v_cmp_lt_u32_e64 s[40:41], v241, v65                       // 00000001B8D0: D0C90028 000283F1
	v_add_u32_e32 v241, 64, v241                               // 00000001B8D8: 69E3E2C0
	s_nop 0                                                    // 00000001B8DC: BF800000
	v_cndmask_b32_e64 v153, v64, v153, s[40:41]                // 00000001B8E0: D1000099 00A33340
	v_cmp_lt_u32_e64 s[40:41], v242, v65                       // 00000001B8E8: D0C90028 000283F2
	v_add_u32_e32 v242, 64, v242                               // 00000001B8F0: 69E5E4C0
	s_nop 0                                                    // 00000001B8F4: BF800000
	v_cndmask_b32_e64 v154, v64, v154, s[40:41]                // 00000001B8F8: D100009A 00A33540
	v_cmp_lt_u32_e64 s[40:41], v243, v65                       // 00000001B900: D0C90028 000283F3
	v_add_u32_e32 v243, 64, v243                               // 00000001B908: 69E7E6C0
	s_nop 0                                                    // 00000001B90C: BF800000
	v_cndmask_b32_e64 v155, v64, v155, s[40:41]                // 00000001B910: D100009B 00A33740
	v_cmp_lt_u32_e64 s[40:41], v240, v65                       // 00000001B918: D0C90028 000283F0
	v_add_u32_e32 v240, 64, v240                               // 00000001B920: 69E1E0C0
	s_nop 0                                                    // 00000001B924: BF800000
	v_cndmask_b32_e64 v156, v64, v156, s[40:41]                // 00000001B928: D100009C 00A33940
	v_cmp_lt_u32_e64 s[40:41], v241, v65                       // 00000001B930: D0C90028 000283F1
	v_add_u32_e32 v241, 64, v241                               // 00000001B938: 69E3E2C0
	s_nop 0                                                    // 00000001B93C: BF800000
	v_cndmask_b32_e64 v157, v64, v157, s[40:41]                // 00000001B940: D100009D 00A33B40
	v_cmp_lt_u32_e64 s[40:41], v242, v65                       // 00000001B948: D0C90028 000283F2
	v_add_u32_e32 v242, 64, v242                               // 00000001B950: 69E5E4C0
	s_nop 0                                                    // 00000001B954: BF800000
	v_cndmask_b32_e64 v158, v64, v158, s[40:41]                // 00000001B958: D100009E 00A33D40
	v_cmp_lt_u32_e64 s[40:41], v243, v65                       // 00000001B960: D0C90028 000283F3
	v_add_u32_e32 v243, 64, v243                               // 00000001B968: 69E7E6C0
	s_nop 0                                                    // 00000001B96C: BF800000
	v_cndmask_b32_e64 v159, v64, v159, s[40:41]                // 00000001B970: D100009F 00A33F40
	v_mov_b32_e32 v48, v144                                    // 00000001B978: 7E600390
	v_max3_f32 v48, v144, v145, v48                            // 00000001B97C: D1D30030 04C32390
	v_max3_f32 v48, v146, v147, v48                            // 00000001B984: D1D30030 04C32792
	v_max3_f32 v48, v148, v149, v48                            // 00000001B98C: D1D30030 04C32B94
	v_max3_f32 v48, v150, v151, v48                            // 00000001B994: D1D30030 04C32F96
	v_max3_f32 v48, v152, v153, v48                            // 00000001B99C: D1D30030 04C33398
	v_max3_f32 v48, v154, v155, v48                            // 00000001B9A4: D1D30030 04C3379A
	v_max3_f32 v48, v156, v157, v48                            // 00000001B9AC: D1D30030 04C33B9C
	v_max3_f32 v48, v158, v159, v48                            // 00000001B9B4: D1D30030 04C33F9E
	ds_write_b32 v8, v48 offset:16896                          // 00000001B9BC: D81A4200 00003008
	v_mul_f32_e32 v224, v51, v224                              // 00000001B9C4: 0BC1C133
	v_mul_f32_e32 v225, v51, v225                              // 00000001B9C8: 0BC3C333
	v_mul_f32_e32 v226, v51, v226                              // 00000001B9CC: 0BC5C533
	v_mul_f32_e32 v227, v51, v227                              // 00000001B9D0: 0BC7C733
	v_mul_f32_e32 v228, v51, v228                              // 00000001B9D4: 0BC9C933
	v_mul_f32_e32 v229, v51, v229                              // 00000001B9D8: 0BCBCB33
	v_mul_f32_e32 v230, v51, v230                              // 00000001B9DC: 0BCDCD33
	v_mul_f32_e32 v231, v51, v231                              // 00000001B9E0: 0BCFCF33
	s_waitcnt lgkmcnt(0)                                       // 00000001B9E4: BF8CC07F
	s_barrier                                                  // 00000001B9E8: BF8A0000
	ds_read_b32 v64, v7 offset:16896                           // 00000001B9EC: D86C4200 40000007
	ds_read_b32 v65, v7 offset:16960                           // 00000001B9F4: D86C4240 41000007
	ds_read_b32 v66, v7 offset:17024                           // 00000001B9FC: D86C4280 42000007
	ds_read_b32 v67, v7 offset:17088                           // 00000001BA04: D86C42C0 43000007
	ds_read_b32 v68, v7 offset:17152                           // 00000001BA0C: D86C4300 44000007
	ds_read_b32 v69, v7 offset:17216                           // 00000001BA14: D86C4340 45000007
	ds_read_b32 v70, v7 offset:17280                           // 00000001BA1C: D86C4380 46000007
	ds_read_b32 v71, v7 offset:17344                           // 00000001BA24: D86C43C0 47000007
	ds_read_b32 v72, v7 offset:17408                           // 00000001BA2C: D86C4400 48000007
	ds_read_b32 v73, v7 offset:17472                           // 00000001BA34: D86C4440 49000007
	ds_read_b32 v74, v7 offset:17536                           // 00000001BA3C: D86C4480 4A000007
	ds_read_b32 v75, v7 offset:17600                           // 00000001BA44: D86C44C0 4B000007
	ds_read_b32 v76, v7 offset:17664                           // 00000001BA4C: D86C4500 4C000007
	ds_read_b32 v77, v7 offset:17728                           // 00000001BA54: D86C4540 4D000007
	ds_read_b32 v78, v7 offset:17792                           // 00000001BA5C: D86C4580 4E000007
	ds_read_b32 v79, v7 offset:17856                           // 00000001BA64: D86C45C0 4F000007
	v_cvt_f32_i32_e32 v192, v192                               // 00000001BA6C: 7F800BC0
	v_cvt_f32_i32_e32 v193, v193                               // 00000001BA70: 7F820BC1
	v_cvt_f32_i32_e32 v194, v194                               // 00000001BA74: 7F840BC2
	v_cvt_f32_i32_e32 v195, v195                               // 00000001BA78: 7F860BC3
	v_cvt_f32_i32_e32 v196, v196                               // 00000001BA7C: 7F880BC4
	v_cvt_f32_i32_e32 v197, v197                               // 00000001BA80: 7F8A0BC5
	v_cvt_f32_i32_e32 v198, v198                               // 00000001BA84: 7F8C0BC6
	v_cvt_f32_i32_e32 v199, v199                               // 00000001BA88: 7F8E0BC7
	v_mul_f32_e32 v192, v46, v192                              // 00000001BA8C: 0B81812E
	v_mul_f32_e32 v193, v46, v193                              // 00000001BA90: 0B83832E
	v_mul_f32_e32 v194, v46, v194                              // 00000001BA94: 0B85852E
	v_mul_f32_e32 v195, v46, v195                              // 00000001BA98: 0B87872E
	v_mul_f32_e32 v196, v46, v196                              // 00000001BA9C: 0B89892E
	v_mul_f32_e32 v197, v46, v197                              // 00000001BAA0: 0B8B8B2E
	v_mul_f32_e32 v198, v46, v198                              // 00000001BAA4: 0B8D8D2E
	v_mul_f32_e32 v199, v46, v199                              // 00000001BAA8: 0B8F8F2E
	s_waitcnt lgkmcnt(0)                                       // 00000001BAAC: BF8CC07F
	v_max3_f32 v48, v64, v65, v48                              // 00000001BAB0: D1D30030 04C28340
	v_max3_f32 v48, v66, v67, v48                              // 00000001BAB8: D1D30030 04C28742
	v_max3_f32 v48, v68, v69, v48                              // 00000001BAC0: D1D30030 04C28B44
	v_max3_f32 v48, v70, v71, v48                              // 00000001BAC8: D1D30030 04C28F46
	v_max3_f32 v48, v72, v73, v48                              // 00000001BAD0: D1D30030 04C29348
	v_max3_f32 v48, v74, v75, v48                              // 00000001BAD8: D1D30030 04C2974A
	v_max3_f32 v48, v76, v77, v48                              // 00000001BAE0: D1D30030 04C29B4C
	v_max3_f32 v48, v78, v79, v48                              // 00000001BAE8: D1D30030 04C29F4E
	v_mov_b32_e32 v64, 0xff800000                              // 00000001BAF0: 7E8002FF FF800000
	v_cmp_eq_u32_e64 s[40:41], v64, v13                        // 00000001BAF8: D0CA0028 00021B40
	s_nop 1                                                    // 00000001BB00: BF800001
	v_max_f32_e32 v15, v48, v13                                // 00000001BB04: 161E1B30
	v_mul_f32_e32 v53, s64, v15                                // 00000001BB08: 0A6A1E40
	v_fma_f32 v144, v144, s64, -v53                            // 00000001BB0C: D1CB0090 84D48190
	v_fma_f32 v145, v145, s64, -v53                            // 00000001BB14: D1CB0091 84D48191
	v_fma_f32 v146, v146, s64, -v53                            // 00000001BB1C: D1CB0092 84D48192
	v_fma_f32 v147, v147, s64, -v53                            // 00000001BB24: D1CB0093 84D48193
	v_fma_f32 v148, v148, s64, -v53                            // 00000001BB2C: D1CB0094 84D48194
	v_fma_f32 v149, v149, s64, -v53                            // 00000001BB34: D1CB0095 84D48195
	v_fma_f32 v150, v150, s64, -v53                            // 00000001BB3C: D1CB0096 84D48196
	v_fma_f32 v151, v151, s64, -v53                            // 00000001BB44: D1CB0097 84D48197
	v_fma_f32 v152, v152, s64, -v53                            // 00000001BB4C: D1CB0098 84D48198
	v_fma_f32 v153, v153, s64, -v53                            // 00000001BB54: D1CB0099 84D48199
	v_fma_f32 v154, v154, s64, -v53                            // 00000001BB5C: D1CB009A 84D4819A
	v_fma_f32 v155, v155, s64, -v53                            // 00000001BB64: D1CB009B 84D4819B
	v_fma_f32 v156, v156, s64, -v53                            // 00000001BB6C: D1CB009C 84D4819C
	v_fma_f32 v157, v157, s64, -v53                            // 00000001BB74: D1CB009D 84D4819D
	v_fma_f32 v158, v158, s64, -v53                            // 00000001BB7C: D1CB009E 84D4819E
	v_fma_f32 v159, v159, s64, -v53                            // 00000001BB84: D1CB009F 84D4819F
	v_exp_f32_e32 v144, v144                                   // 00000001BB8C: 7F204190
	v_exp_f32_e32 v145, v145                                   // 00000001BB90: 7F224191
	v_exp_f32_e32 v146, v146                                   // 00000001BB94: 7F244192
	v_exp_f32_e32 v147, v147                                   // 00000001BB98: 7F264193
	v_exp_f32_e32 v148, v148                                   // 00000001BB9C: 7F284194
	v_exp_f32_e32 v149, v149                                   // 00000001BBA0: 7F2A4195
	v_exp_f32_e32 v150, v150                                   // 00000001BBA4: 7F2C4196
	v_exp_f32_e32 v151, v151                                   // 00000001BBA8: 7F2E4197
	v_exp_f32_e32 v152, v152                                   // 00000001BBAC: 7F304198
	v_exp_f32_e32 v153, v153                                   // 00000001BBB0: 7F324199
	v_exp_f32_e32 v154, v154                                   // 00000001BBB4: 7F34419A
	v_exp_f32_e32 v155, v155                                   // 00000001BBB8: 7F36419B
	v_exp_f32_e32 v156, v156                                   // 00000001BBBC: 7F38419C
	v_exp_f32_e32 v157, v157                                   // 00000001BBC0: 7F3A419D
	v_exp_f32_e32 v158, v158                                   // 00000001BBC4: 7F3C419E
	v_exp_f32_e32 v159, v159                                   // 00000001BBC8: 7F3E419F
	v_mul_f32_dpp v240, v252, v144 quad_perm:[0,0,0,0] row_mask:0xf bank_mask:0xf// 00000001BBCC: 0BE120FA FF0000FC
	v_mul_f32_dpp v241, v252, v145 quad_perm:[1,1,1,1] row_mask:0xf bank_mask:0xf// 00000001BBD4: 0BE322FA FF0055FC
	v_mul_f32_dpp v242, v252, v146 quad_perm:[2,2,2,2] row_mask:0xf bank_mask:0xf// 00000001BBDC: 0BE524FA FF00AAFC
	v_mul_f32_dpp v243, v252, v147 quad_perm:[3,3,3,3] row_mask:0xf bank_mask:0xf// 00000001BBE4: 0BE726FA FF00FFFC
	v_mul_f32_dpp v244, v253, v148 quad_perm:[0,0,0,0] row_mask:0xf bank_mask:0xf// 00000001BBEC: 0BE928FA FF0000FD
	v_mul_f32_dpp v245, v253, v149 quad_perm:[1,1,1,1] row_mask:0xf bank_mask:0xf// 00000001BBF4: 0BEB2AFA FF0055FD
	v_mul_f32_dpp v246, v253, v150 quad_perm:[2,2,2,2] row_mask:0xf bank_mask:0xf// 00000001BBFC: 0BED2CFA FF00AAFD
	v_mul_f32_dpp v247, v253, v151 quad_perm:[3,3,3,3] row_mask:0xf bank_mask:0xf// 00000001BC04: 0BEF2EFA FF00FFFD
	v_mul_f32_dpp v248, v254, v152 quad_perm:[0,0,0,0] row_mask:0xf bank_mask:0xf// 00000001BC0C: 0BF130FA FF0000FE
	v_mul_f32_dpp v249, v254, v153 quad_perm:[1,1,1,1] row_mask:0xf bank_mask:0xf// 00000001BC14: 0BF332FA FF0055FE
	v_mul_f32_dpp v250, v254, v154 quad_perm:[2,2,2,2] row_mask:0xf bank_mask:0xf// 00000001BC1C: 0BF534FA FF00AAFE
	v_mul_f32_dpp v251, v254, v155 quad_perm:[3,3,3,3] row_mask:0xf bank_mask:0xf// 00000001BC24: 0BF736FA FF00FFFE
	v_mul_f32_dpp v252, v255, v156 quad_perm:[0,0,0,0] row_mask:0xf bank_mask:0xf// 00000001BC2C: 0BF938FA FF0000FF
	v_mul_f32_dpp v253, v255, v157 quad_perm:[1,1,1,1] row_mask:0xf bank_mask:0xf// 00000001BC34: 0BFB3AFA FF0055FF
	v_mul_f32_dpp v254, v255, v158 quad_perm:[2,2,2,2] row_mask:0xf bank_mask:0xf// 00000001BC3C: 0BFD3CFA FF00AAFF
	v_mul_f32_dpp v255, v255, v159 quad_perm:[3,3,3,3] row_mask:0xf bank_mask:0xf// 00000001BC44: 0BFF3EFA FF00FFFF
	v_mov_b32_e32 v48, 0x358637bd                              // 00000001BC4C: 7E6002FF 358637BD
	v_max3_f32 v48, |v240|, |v241|, v48                        // 00000001BC54: D1D30330 04C3E3F0
	v_max3_f32 v48, |v242|, |v243|, v48                        // 00000001BC5C: D1D30330 04C3E7F2
	v_max3_f32 v48, |v244|, |v245|, v48                        // 00000001BC64: D1D30330 04C3EBF4
	v_max3_f32 v48, |v246|, |v247|, v48                        // 00000001BC6C: D1D30330 04C3EFF6
	v_max3_f32 v48, |v248|, |v249|, v48                        // 00000001BC74: D1D30330 04C3F3F8
	v_max3_f32 v48, |v250|, |v251|, v48                        // 00000001BC7C: D1D30330 04C3F7FA
	v_max3_f32 v48, |v252|, |v253|, v48                        // 00000001BC84: D1D30330 04C3FBFC
	v_max3_f32 v48, |v254|, |v255|, v48                        // 00000001BC8C: D1D30330 04C3FFFE
	ds_write_b32 v8, v48 offset:20992                          // 00000001BC94: D81A5200 00003008
	v_sub_f32_e32 v51, v13, v15                                // 00000001BC9C: 04661F0D
	v_cndmask_b32_e64 v51, v51, 0, s[40:41]                    // 00000001BCA0: D1000033 00A10133
	v_mov_b32_e32 v13, v15                                     // 00000001BCA8: 7E1A030F
	v_mul_f32_e32 v51, s64, v51                                // 00000001BCAC: 0A666640
	v_exp_f32_e32 v51, v51                                     // 00000001BCB0: 7E664133
	s_waitcnt lgkmcnt(0)                                       // 00000001BCB4: BF8CC07F
	s_barrier                                                  // 00000001BCB8: BF8A0000
	ds_read_b32 v64, v7 offset:20992                           // 00000001BCBC: D86C5200 40000007
	ds_read_b32 v65, v7 offset:21056                           // 00000001BCC4: D86C5240 41000007
	ds_read_b32 v66, v7 offset:21120                           // 00000001BCCC: D86C5280 42000007
	ds_read_b32 v67, v7 offset:21184                           // 00000001BCD4: D86C52C0 43000007
	ds_read_b32 v68, v7 offset:21248                           // 00000001BCDC: D86C5300 44000007
	ds_read_b32 v69, v7 offset:21312                           // 00000001BCE4: D86C5340 45000007
	ds_read_b32 v70, v7 offset:21376                           // 00000001BCEC: D86C5380 46000007
	ds_read_b32 v71, v7 offset:21440                           // 00000001BCF4: D86C53C0 47000007
	ds_read_b32 v72, v7 offset:21504                           // 00000001BCFC: D86C5400 48000007
	ds_read_b32 v73, v7 offset:21568                           // 00000001BD04: D86C5440 49000007
	ds_read_b32 v74, v7 offset:21632                           // 00000001BD0C: D86C5480 4A000007
	ds_read_b32 v75, v7 offset:21696                           // 00000001BD14: D86C54C0 4B000007
	ds_read_b32 v76, v7 offset:21760                           // 00000001BD1C: D86C5500 4C000007
	ds_read_b32 v77, v7 offset:21824                           // 00000001BD24: D86C5540 4D000007
	ds_read_b32 v78, v7 offset:21888                           // 00000001BD2C: D86C5580 4E000007
	ds_read_b32 v79, v7 offset:21952                           // 00000001BD34: D86C55C0 4F000007
	v_mul_f32_e32 v40, v51, v40                                // 00000001BD3C: 0A505133
	v_mov_b32_e32 v15, v144                                    // 00000001BD40: 7E1E0390
	v_add_f32_e32 v15, v145, v15                               // 00000001BD44: 021E1F91
	v_add_f32_e32 v15, v146, v15                               // 00000001BD48: 021E1F92
	v_add_f32_e32 v15, v147, v15                               // 00000001BD4C: 021E1F93
	v_add_f32_e32 v15, v148, v15                               // 00000001BD50: 021E1F94
	v_add_f32_e32 v15, v149, v15                               // 00000001BD54: 021E1F95
	v_add_f32_e32 v15, v150, v15                               // 00000001BD58: 021E1F96
	v_add_f32_e32 v15, v151, v15                               // 00000001BD5C: 021E1F97
	v_add_f32_e32 v15, v152, v15                               // 00000001BD60: 021E1F98
	v_add_f32_e32 v15, v153, v15                               // 00000001BD64: 021E1F99
	v_add_f32_e32 v15, v154, v15                               // 00000001BD68: 021E1F9A
	v_add_f32_e32 v15, v155, v15                               // 00000001BD6C: 021E1F9B
	v_add_f32_e32 v15, v156, v15                               // 00000001BD70: 021E1F9C
	v_add_f32_e32 v15, v157, v15                               // 00000001BD74: 021E1F9D
	v_add_f32_e32 v15, v158, v15                               // 00000001BD78: 021E1F9E
	v_add_f32_e32 v15, v159, v15                               // 00000001BD7C: 021E1F9F
	v_add_f32_e32 v40, v15, v40                                // 00000001BD80: 0250510F
	s_waitcnt lgkmcnt(0)                                       // 00000001BD84: BF8CC07F
	v_max3_f32 v48, |v64|, |v65|, v48                          // 00000001BD88: D1D30330 04C28340
	v_max3_f32 v48, |v66|, |v67|, v48                          // 00000001BD90: D1D30330 04C28742
	v_max3_f32 v48, |v68|, |v69|, v48                          // 00000001BD98: D1D30330 04C28B44
	v_max3_f32 v48, |v70|, |v71|, v48                          // 00000001BDA0: D1D30330 04C28F46
	v_max3_f32 v48, |v72|, |v73|, v48                          // 00000001BDA8: D1D30330 04C29348
	v_max3_f32 v48, |v74|, |v75|, v48                          // 00000001BDB0: D1D30330 04C2974A
	v_max3_f32 v48, |v76|, |v77|, v48                          // 00000001BDB8: D1D30330 04C29B4C
	v_max3_f32 v48, |v78|, |v79|, v48                          // 00000001BDC0: D1D30330 04C29F4E
	s_nop 2                                                    // 00000001BDC8: BF800002
	v_rcp_f32_e32 v48, v48                                     // 00000001BDCC: 7E604530
	s_nop 1                                                    // 00000001BDD0: BF800001
	v_mul_f32_e32 v48, 0x42fe0000, v48                         // 00000001BDD4: 0A6060FF 42FE0000
	v_mul_f32_e32 v144, v48, v240                              // 00000001BDDC: 0B21E130
	v_mul_f32_e32 v145, v48, v241                              // 00000001BDE0: 0B23E330
	v_mul_f32_e32 v146, v48, v242                              // 00000001BDE4: 0B25E530
	v_mul_f32_e32 v147, v48, v243                              // 00000001BDE8: 0B27E730
	v_mul_f32_e32 v148, v48, v244                              // 00000001BDEC: 0B29E930
	v_mul_f32_e32 v149, v48, v245                              // 00000001BDF0: 0B2BEB30
	v_mul_f32_e32 v150, v48, v246                              // 00000001BDF4: 0B2DED30
	v_mul_f32_e32 v151, v48, v247                              // 00000001BDF8: 0B2FEF30
	v_mul_f32_e32 v152, v48, v248                              // 00000001BDFC: 0B31F130
	v_mul_f32_e32 v153, v48, v249                              // 00000001BE00: 0B33F330
	v_mul_f32_e32 v154, v48, v250                              // 00000001BE04: 0B35F530
	v_mul_f32_e32 v155, v48, v251                              // 00000001BE08: 0B37F730
	v_mul_f32_e32 v156, v48, v252                              // 00000001BE0C: 0B39F930
	v_mul_f32_e32 v157, v48, v253                              // 00000001BE10: 0B3BFB30
	v_mul_f32_e32 v158, v48, v254                              // 00000001BE14: 0B3DFD30
	v_mul_f32_e32 v159, v48, v255                              // 00000001BE18: 0B3FFF30
	v_cvt_i32_f32_e32 v144, v144                               // 00000001BE1C: 7F201190
	v_cvt_i32_f32_e32 v145, v145                               // 00000001BE20: 7F221191
	v_cvt_i32_f32_e32 v146, v146                               // 00000001BE24: 7F241192
	v_cvt_i32_f32_e32 v147, v147                               // 00000001BE28: 7F261193
	v_cvt_i32_f32_e32 v148, v148                               // 00000001BE2C: 7F281194
	v_cvt_i32_f32_e32 v149, v149                               // 00000001BE30: 7F2A1195
	v_cvt_i32_f32_e32 v150, v150                               // 00000001BE34: 7F2C1196
	v_cvt_i32_f32_e32 v151, v151                               // 00000001BE38: 7F2E1197
	v_cvt_i32_f32_e32 v152, v152                               // 00000001BE3C: 7F301198
	v_cvt_i32_f32_e32 v153, v153                               // 00000001BE40: 7F321199
	v_cvt_i32_f32_e32 v154, v154                               // 00000001BE44: 7F34119A
	v_cvt_i32_f32_e32 v155, v155                               // 00000001BE48: 7F36119B
	v_cvt_i32_f32_e32 v156, v156                               // 00000001BE4C: 7F38119C
	v_cvt_i32_f32_e32 v157, v157                               // 00000001BE50: 7F3A119D
	v_cvt_i32_f32_e32 v158, v158                               // 00000001BE54: 7F3C119E
	v_cvt_i32_f32_e32 v159, v159                               // 00000001BE58: 7F3E119F
	v_perm_b32 v144, v145, v144, s53                           // 00000001BE5C: D1ED0090 00D72191
	v_perm_b32 v144, v146, v144, s54                           // 00000001BE64: D1ED0090 00DB2192
	v_perm_b32 v144, v147, v144, s55                           // 00000001BE6C: D1ED0090 00DF2193
	v_perm_b32 v145, v149, v148, s53                           // 00000001BE74: D1ED0091 00D72995
	v_perm_b32 v145, v150, v145, s54                           // 00000001BE7C: D1ED0091 00DB2396
	v_perm_b32 v145, v151, v145, s55                           // 00000001BE84: D1ED0091 00DF2397
	v_perm_b32 v146, v153, v152, s53                           // 00000001BE8C: D1ED0092 00D73199
	v_perm_b32 v146, v154, v146, s54                           // 00000001BE94: D1ED0092 00DB259A
	v_perm_b32 v146, v155, v146, s55                           // 00000001BE9C: D1ED0092 00DF259B
	v_perm_b32 v147, v157, v156, s53                           // 00000001BEA4: D1ED0093 00D7399D
	v_perm_b32 v147, v158, v147, s54                           // 00000001BEAC: D1ED0093 00DB279E
	v_perm_b32 v147, v159, v147, s55                           // 00000001BEB4: D1ED0093 00DF279F
	ds_write_b32 v10, v144 offset:33280                        // 00000001BEBC: D81A8200 0000900A
	ds_write_b32 v10, v145 offset:34304                        // 00000001BEC4: D81A8600 0000910A
	ds_write_b32 v10, v146 offset:35328                        // 00000001BECC: D81A8A00 0000920A
	ds_write_b32 v10, v147 offset:36352                        // 00000001BED4: D81A8E00 0000930A
	v_add_f32_e32 v224, v224, v192                             // 00000001BEDC: 03C181E0
	v_add_f32_e32 v225, v225, v193                             // 00000001BEE0: 03C383E1
	v_add_f32_e32 v226, v226, v194                             // 00000001BEE4: 03C585E2
	v_add_f32_e32 v227, v227, v195                             // 00000001BEE8: 03C787E3
	v_add_f32_e32 v228, v228, v196                             // 00000001BEEC: 03C989E4
	v_add_f32_e32 v229, v229, v197                             // 00000001BEF0: 03CB8BE5
	v_add_f32_e32 v230, v230, v198                             // 00000001BEF4: 03CD8DE6
	v_add_f32_e32 v231, v231, v199                             // 00000001BEF8: 03CF8FE7
	v_rcp_f32_e32 v46, v48                                     // 00000001BEFC: 7E5C4530
	s_waitcnt lgkmcnt(0)                                       // 00000001BF00: BF8CC07F
	s_barrier                                                  // 00000001BF04: BF8A0000
	ds_read_b64 v[144:145], v9 offset:33280                    // 00000001BF08: D8EC8200 90000009
	ds_read_b64 v[146:147], v9 offset:33408                    // 00000001BF10: D8EC8280 92000009
	ds_read_b64 v[148:149], v9 offset:34304                    // 00000001BF18: D8EC8600 94000009
	ds_read_b64 v[150:151], v9 offset:34432                    // 00000001BF20: D8EC8680 96000009
	ds_read_b64 v[152:153], v9 offset:35328                    // 00000001BF28: D8EC8A00 98000009
	ds_read_b64 v[154:155], v9 offset:35456                    // 00000001BF30: D8EC8A80 9A000009
	ds_read_b64 v[156:157], v9 offset:36352                    // 00000001BF38: D8EC8E00 9C000009
	ds_read_b64 v[158:159], v9 offset:36480                    // 00000001BF40: D8EC8E80 9E000009
	s_waitcnt vmcnt(0)                                         // 00000001BF48: BF8C0F70
	s_barrier                                                  // 00000001BF4C: BF8A0000
	v_mfma_i32_16x16x32_i8 v[176:179], a[64:65], v[112:113], 0 // 00000001BF50: D3D700B0 0A02E140
	v_mfma_i32_16x16x32_i8 v[176:179], a[66:67], v[114:115], v[176:179]// 00000001BF58: D3D700B0 0EC2E542
	v_mfma_i32_16x16x32_i8 v[176:179], a[68:69], v[116:117], v[176:179]// 00000001BF60: D3D700B0 0EC2E944
	v_mfma_i32_16x16x32_i8 v[176:179], a[70:71], v[118:119], v[176:179]// 00000001BF68: D3D700B0 0EC2ED46
	v_mfma_i32_16x16x32_i8 v[176:179], a[72:73], v[120:121], v[176:179]// 00000001BF70: D3D700B0 0EC2F148
	v_mfma_i32_16x16x32_i8 v[176:179], a[74:75], v[122:123], v[176:179]// 00000001BF78: D3D700B0 0EC2F54A
	v_mfma_i32_16x16x32_i8 v[176:179], a[76:77], v[124:125], v[176:179]// 00000001BF80: D3D700B0 0EC2F94C
	v_mfma_i32_16x16x32_i8 v[176:179], a[78:79], v[126:127], v[176:179]// 00000001BF88: D3D700B0 0EC2FD4E
	v_mfma_i32_16x16x32_i8 v[180:183], a[80:81], v[112:113], 0 // 00000001BF90: D3D700B4 0A02E150
	v_mfma_i32_16x16x32_i8 v[180:183], a[82:83], v[114:115], v[180:183]// 00000001BF98: D3D700B4 0ED2E552
	v_mfma_i32_16x16x32_i8 v[180:183], a[84:85], v[116:117], v[180:183]// 00000001BFA0: D3D700B4 0ED2E954
	v_mfma_i32_16x16x32_i8 v[180:183], a[86:87], v[118:119], v[180:183]// 00000001BFA8: D3D700B4 0ED2ED56
	v_mfma_i32_16x16x32_i8 v[180:183], a[88:89], v[120:121], v[180:183]// 00000001BFB0: D3D700B4 0ED2F158
	v_mfma_i32_16x16x32_i8 v[180:183], a[90:91], v[122:123], v[180:183]// 00000001BFB8: D3D700B4 0ED2F55A
	v_mfma_i32_16x16x32_i8 v[180:183], a[92:93], v[124:125], v[180:183]// 00000001BFC0: D3D700B4 0ED2F95C
	v_mfma_i32_16x16x32_i8 v[180:183], a[94:95], v[126:127], v[180:183]// 00000001BFC8: D3D700B4 0ED2FD5E
	v_mfma_i32_16x16x32_i8 v[184:187], a[64:65], v[128:129], 0 // 00000001BFD0: D3D700B8 0A030140
	v_mfma_i32_16x16x32_i8 v[184:187], a[66:67], v[130:131], v[184:187]// 00000001BFD8: D3D700B8 0EE30542
	v_mfma_i32_16x16x32_i8 v[184:187], a[68:69], v[132:133], v[184:187]// 00000001BFE0: D3D700B8 0EE30944
	v_mfma_i32_16x16x32_i8 v[184:187], a[70:71], v[134:135], v[184:187]// 00000001BFE8: D3D700B8 0EE30D46
	v_mfma_i32_16x16x32_i8 v[184:187], a[72:73], v[136:137], v[184:187]// 00000001BFF0: D3D700B8 0EE31148
	v_mfma_i32_16x16x32_i8 v[184:187], a[74:75], v[138:139], v[184:187]// 00000001BFF8: D3D700B8 0EE3154A
	v_mfma_i32_16x16x32_i8 v[184:187], a[76:77], v[140:141], v[184:187]// 00000001C000: D3D700B8 0EE3194C
	v_mfma_i32_16x16x32_i8 v[184:187], a[78:79], v[142:143], v[184:187]// 00000001C008: D3D700B8 0EE31D4E
	v_mfma_i32_16x16x32_i8 v[188:191], a[80:81], v[128:129], 0 // 00000001C010: D3D700BC 0A030150
	v_mfma_i32_16x16x32_i8 v[188:191], a[82:83], v[130:131], v[188:191]// 00000001C018: D3D700BC 0EF30552
	v_mfma_i32_16x16x32_i8 v[188:191], a[84:85], v[132:133], v[188:191]// 00000001C020: D3D700BC 0EF30954
	v_mfma_i32_16x16x32_i8 v[188:191], a[86:87], v[134:135], v[188:191]// 00000001C028: D3D700BC 0EF30D56
	v_mfma_i32_16x16x32_i8 v[188:191], a[88:89], v[136:137], v[188:191]// 00000001C030: D3D700BC 0EF31158
	v_mfma_i32_16x16x32_i8 v[188:191], a[90:91], v[138:139], v[188:191]// 00000001C038: D3D700BC 0EF3155A
	v_mfma_i32_16x16x32_i8 v[188:191], a[92:93], v[140:141], v[188:191]// 00000001C040: D3D700BC 0EF3195C
	v_mfma_i32_16x16x32_i8 v[188:191], a[94:95], v[142:143], v[188:191]// 00000001C048: D3D700BC 0EF31D5E
	v_mfma_i32_16x16x32_i8 v[192:195], a[64:65], v[144:145], 0 // 00000001C050: D3D700C0 0A032140
	v_mfma_i32_16x16x32_i8 v[192:195], a[66:67], v[146:147], v[192:195]// 00000001C058: D3D700C0 0F032542
	v_mfma_i32_16x16x32_i8 v[192:195], a[68:69], v[148:149], v[192:195]// 00000001C060: D3D700C0 0F032944
	v_mfma_i32_16x16x32_i8 v[192:195], a[70:71], v[150:151], v[192:195]// 00000001C068: D3D700C0 0F032D46
	v_mfma_i32_16x16x32_i8 v[192:195], a[72:73], v[152:153], v[192:195]// 00000001C070: D3D700C0 0F033148
	v_mfma_i32_16x16x32_i8 v[192:195], a[74:75], v[154:155], v[192:195]// 00000001C078: D3D700C0 0F03354A
	v_mfma_i32_16x16x32_i8 v[192:195], a[76:77], v[156:157], v[192:195]// 00000001C080: D3D700C0 0F03394C
	v_mfma_i32_16x16x32_i8 v[192:195], a[78:79], v[158:159], v[192:195]// 00000001C088: D3D700C0 0F033D4E
	v_mfma_i32_16x16x32_i8 v[196:199], a[80:81], v[144:145], 0 // 00000001C090: D3D700C4 0A032150
	v_mfma_i32_16x16x32_i8 v[196:199], a[82:83], v[146:147], v[196:199]// 00000001C098: D3D700C4 0F132552
	v_mfma_i32_16x16x32_i8 v[196:199], a[84:85], v[148:149], v[196:199]// 00000001C0A0: D3D700C4 0F132954
	v_mfma_i32_16x16x32_i8 v[196:199], a[86:87], v[150:151], v[196:199]// 00000001C0A8: D3D700C4 0F132D56
	v_mfma_i32_16x16x32_i8 v[196:199], a[88:89], v[152:153], v[196:199]// 00000001C0B0: D3D700C4 0F133158
	v_mfma_i32_16x16x32_i8 v[196:199], a[90:91], v[154:155], v[196:199]// 00000001C0B8: D3D700C4 0F13355A
	v_mfma_i32_16x16x32_i8 v[196:199], a[92:93], v[156:157], v[196:199]// 00000001C0C0: D3D700C4 0F13395C
	v_mfma_i32_16x16x32_i8 v[196:199], a[94:95], v[158:159], v[196:199]// 00000001C0C8: D3D700C4 0F133D5E
	s_nop 4                                                    // 00000001C0D0: BF800004
	s_branch label_70DE                                        // 00000001C0D4: BF820928

000000000001c0d8 <label_67B6>:
	s_waitcnt vmcnt(8) lgkmcnt(0)                              // 00000001C0D8: BF8C0078
	s_barrier                                                  // 00000001C0DC: BF8A0000
	v_mfma_i32_16x16x32_i8 v[112:115], a[32:33], v[80:81], 0   // 00000001C0E0: D3D70070 0A02A120
	v_mfma_i32_16x16x32_i8 v[112:115], a[34:35], v[82:83], v[112:115]// 00000001C0E8: D3D70070 0DC2A522
	v_mfma_i32_16x16x32_i8 v[112:115], a[36:37], v[84:85], v[112:115]// 00000001C0F0: D3D70070 0DC2A924
	v_mfma_i32_16x16x32_i8 v[112:115], a[38:39], v[86:87], v[112:115]// 00000001C0F8: D3D70070 0DC2AD26
	v_mfma_i32_16x16x32_i8 v[116:119], a[40:41], v[80:81], 0   // 00000001C100: D3D70074 0A02A128
	v_mfma_i32_16x16x32_i8 v[116:119], a[42:43], v[82:83], v[116:119]// 00000001C108: D3D70074 0DD2A52A
	v_mfma_i32_16x16x32_i8 v[116:119], a[44:45], v[84:85], v[116:119]// 00000001C110: D3D70074 0DD2A92C
	v_mfma_i32_16x16x32_i8 v[116:119], a[46:47], v[86:87], v[116:119]// 00000001C118: D3D70074 0DD2AD2E
	v_mfma_i32_16x16x32_i8 v[120:123], a[48:49], v[80:81], 0   // 00000001C120: D3D70078 0A02A130
	v_mfma_i32_16x16x32_i8 v[120:123], a[50:51], v[82:83], v[120:123]// 00000001C128: D3D70078 0DE2A532
	v_mfma_i32_16x16x32_i8 v[120:123], a[52:53], v[84:85], v[120:123]// 00000001C130: D3D70078 0DE2A934
	v_mfma_i32_16x16x32_i8 v[120:123], a[54:55], v[86:87], v[120:123]// 00000001C138: D3D70078 0DE2AD36
	v_mfma_i32_16x16x32_i8 v[124:127], a[56:57], v[80:81], 0   // 00000001C140: D3D7007C 0A02A138
	v_mfma_i32_16x16x32_i8 v[124:127], a[58:59], v[82:83], v[124:127]// 00000001C148: D3D7007C 0DF2A53A
	v_mfma_i32_16x16x32_i8 v[124:127], a[60:61], v[84:85], v[124:127]// 00000001C150: D3D7007C 0DF2A93C
	v_mfma_i32_16x16x32_i8 v[124:127], a[62:63], v[86:87], v[124:127]// 00000001C158: D3D7007C 0DF2AD3E
	v_mfma_i32_16x16x32_i8 v[128:131], a[32:33], v[88:89], 0   // 00000001C160: D3D70080 0A02B120
	v_mfma_i32_16x16x32_i8 v[128:131], a[34:35], v[90:91], v[128:131]// 00000001C168: D3D70080 0E02B522
	v_mfma_i32_16x16x32_i8 v[128:131], a[36:37], v[92:93], v[128:131]// 00000001C170: D3D70080 0E02B924
	v_mfma_i32_16x16x32_i8 v[128:131], a[38:39], v[94:95], v[128:131]// 00000001C178: D3D70080 0E02BD26
	v_mfma_i32_16x16x32_i8 v[132:135], a[40:41], v[88:89], 0   // 00000001C180: D3D70084 0A02B128
	v_mfma_i32_16x16x32_i8 v[132:135], a[42:43], v[90:91], v[132:135]// 00000001C188: D3D70084 0E12B52A
	v_mfma_i32_16x16x32_i8 v[132:135], a[44:45], v[92:93], v[132:135]// 00000001C190: D3D70084 0E12B92C
	v_mfma_i32_16x16x32_i8 v[132:135], a[46:47], v[94:95], v[132:135]// 00000001C198: D3D70084 0E12BD2E
	v_mfma_i32_16x16x32_i8 v[136:139], a[48:49], v[88:89], 0   // 00000001C1A0: D3D70088 0A02B130
	v_mfma_i32_16x16x32_i8 v[136:139], a[50:51], v[90:91], v[136:139]// 00000001C1A8: D3D70088 0E22B532
	v_mfma_i32_16x16x32_i8 v[136:139], a[52:53], v[92:93], v[136:139]// 00000001C1B0: D3D70088 0E22B934
	v_mfma_i32_16x16x32_i8 v[136:139], a[54:55], v[94:95], v[136:139]// 00000001C1B8: D3D70088 0E22BD36
	v_mfma_i32_16x16x32_i8 v[140:143], a[56:57], v[88:89], 0   // 00000001C1C0: D3D7008C 0A02B138
	v_mfma_i32_16x16x32_i8 v[140:143], a[58:59], v[90:91], v[140:143]// 00000001C1C8: D3D7008C 0E32B53A
	v_mfma_i32_16x16x32_i8 v[140:143], a[60:61], v[92:93], v[140:143]// 00000001C1D0: D3D7008C 0E32B93C
	v_mfma_i32_16x16x32_i8 v[140:143], a[62:63], v[94:95], v[140:143]// 00000001C1D8: D3D7008C 0E32BD3E
	v_mfma_i32_16x16x32_i8 v[144:147], a[32:33], v[96:97], 0   // 00000001C1E0: D3D70090 0A02C120
	v_mfma_i32_16x16x32_i8 v[144:147], a[34:35], v[98:99], v[144:147]// 00000001C1E8: D3D70090 0E42C522
	v_mfma_i32_16x16x32_i8 v[144:147], a[36:37], v[100:101], v[144:147]// 00000001C1F0: D3D70090 0E42C924
	v_mfma_i32_16x16x32_i8 v[144:147], a[38:39], v[102:103], v[144:147]// 00000001C1F8: D3D70090 0E42CD26
	v_mfma_i32_16x16x32_i8 v[148:151], a[40:41], v[96:97], 0   // 00000001C200: D3D70094 0A02C128
	v_mfma_i32_16x16x32_i8 v[148:151], a[42:43], v[98:99], v[148:151]// 00000001C208: D3D70094 0E52C52A
	v_mfma_i32_16x16x32_i8 v[148:151], a[44:45], v[100:101], v[148:151]// 00000001C210: D3D70094 0E52C92C
	v_mfma_i32_16x16x32_i8 v[148:151], a[46:47], v[102:103], v[148:151]// 00000001C218: D3D70094 0E52CD2E
	v_mfma_i32_16x16x32_i8 v[152:155], a[48:49], v[96:97], 0   // 00000001C220: D3D70098 0A02C130
	v_mfma_i32_16x16x32_i8 v[152:155], a[50:51], v[98:99], v[152:155]// 00000001C228: D3D70098 0E62C532
	v_mfma_i32_16x16x32_i8 v[152:155], a[52:53], v[100:101], v[152:155]// 00000001C230: D3D70098 0E62C934
	v_mfma_i32_16x16x32_i8 v[152:155], a[54:55], v[102:103], v[152:155]// 00000001C238: D3D70098 0E62CD36
	v_mfma_i32_16x16x32_i8 v[156:159], a[56:57], v[96:97], 0   // 00000001C240: D3D7009C 0A02C138
	v_mfma_i32_16x16x32_i8 v[156:159], a[58:59], v[98:99], v[156:159]// 00000001C248: D3D7009C 0E72C53A
	v_mfma_i32_16x16x32_i8 v[156:159], a[60:61], v[100:101], v[156:159]// 00000001C250: D3D7009C 0E72C93C
	v_mfma_i32_16x16x32_i8 v[156:159], a[62:63], v[102:103], v[156:159]// 00000001C258: D3D7009C 0E72CD3E
	v_mov_b32_dpp v64, v43 row_shr:4 row_mask:0xf bank_mask:0xf// 00000001C260: 7E8002FA FF01142B
	v_mov_b32_dpp v65, v43 row_shl:4 row_mask:0xf bank_mask:0xf// 00000001C268: 7E8202FA FF01042B
	v_cndmask_b32_e64 v248, v43, v64, s[44:45]                 // 00000001C270: D10000F8 00B2812B
	v_cndmask_b32_e64 v249, v65, v43, s[44:45]                 // 00000001C278: D10000F9 00B25741
	v_mov_b32_dpp v64, v248 row_shr:8 row_mask:0xf bank_mask:0xf// 00000001C280: 7E8002FA FF0118F8
	v_mov_b32_dpp v65, v248 row_shl:8 row_mask:0xf bank_mask:0xf// 00000001C288: 7E8202FA FF0108F8
	v_mov_b32_dpp v66, v249 row_shr:8 row_mask:0xf bank_mask:0xf// 00000001C290: 7E8402FA FF0118F9
	v_mov_b32_dpp v67, v249 row_shl:8 row_mask:0xf bank_mask:0xf// 00000001C298: 7E8602FA FF0108F9
	v_mov_b32_e32 v68, v248                                    // 00000001C2A0: 7E8803F8
	v_mov_b32_e32 v69, v249                                    // 00000001C2A4: 7E8A03F9
	v_cndmask_b32_e64 v248, v68, v64, s[42:43]                 // 00000001C2A8: D10000F8 00AA8144
	v_cndmask_b32_e64 v250, v68, v65, s[78:79]                 // 00000001C2B0: D10000FA 013A8344
	v_cndmask_b32_e64 v249, v69, v66, s[42:43]                 // 00000001C2B8: D10000F9 00AA8545
	v_cndmask_b32_e64 v251, v69, v67, s[78:79]                 // 00000001C2C0: D10000FB 013A8745
	v_mov_b32_dpp v64, v58 row_shr:4 row_mask:0xf bank_mask:0xf// 00000001C2C8: 7E8002FA FF01143A
	v_mov_b32_dpp v65, v58 row_shl:4 row_mask:0xf bank_mask:0xf// 00000001C2D0: 7E8202FA FF01043A
	v_cndmask_b32_e64 v252, v58, v64, s[44:45]                 // 00000001C2D8: D10000FC 00B2813A
	v_cndmask_b32_e64 v253, v65, v58, s[44:45]                 // 00000001C2E0: D10000FD 00B27541
	v_mov_b32_dpp v64, v252 row_shr:8 row_mask:0xf bank_mask:0xf// 00000001C2E8: 7E8002FA FF0118FC
	v_mov_b32_dpp v65, v252 row_shl:8 row_mask:0xf bank_mask:0xf// 00000001C2F0: 7E8202FA FF0108FC
	v_mov_b32_dpp v66, v253 row_shr:8 row_mask:0xf bank_mask:0xf// 00000001C2F8: 7E8402FA FF0118FD
	v_mov_b32_dpp v67, v253 row_shl:8 row_mask:0xf bank_mask:0xf// 00000001C300: 7E8602FA FF0108FD
	v_mov_b32_e32 v68, v252                                    // 00000001C308: 7E8803FC
	v_mov_b32_e32 v69, v253                                    // 00000001C30C: 7E8A03FD
	v_cndmask_b32_e64 v252, v68, v64, s[42:43]                 // 00000001C310: D10000FC 00AA8144
	v_cndmask_b32_e64 v254, v68, v65, s[78:79]                 // 00000001C318: D10000FE 013A8344
	v_cndmask_b32_e64 v253, v69, v66, s[42:43]                 // 00000001C320: D10000FD 00AA8545
	v_cndmask_b32_e64 v255, v69, v67, s[78:79]                 // 00000001C328: D10000FF 013A8745
	v_cvt_f32_i32_e32 v112, v112                               // 00000001C330: 7EE00B70
	v_cvt_f32_i32_e32 v113, v113                               // 00000001C334: 7EE20B71
	v_cvt_f32_i32_e32 v114, v114                               // 00000001C338: 7EE40B72
	v_cvt_f32_i32_e32 v115, v115                               // 00000001C33C: 7EE60B73
	v_cvt_f32_i32_e32 v116, v116                               // 00000001C340: 7EE80B74
	v_cvt_f32_i32_e32 v117, v117                               // 00000001C344: 7EEA0B75
	v_cvt_f32_i32_e32 v118, v118                               // 00000001C348: 7EEC0B76
	v_cvt_f32_i32_e32 v119, v119                               // 00000001C34C: 7EEE0B77
	v_cvt_f32_i32_e32 v120, v120                               // 00000001C350: 7EF00B78
	v_cvt_f32_i32_e32 v121, v121                               // 00000001C354: 7EF20B79
	v_cvt_f32_i32_e32 v122, v122                               // 00000001C358: 7EF40B7A
	v_cvt_f32_i32_e32 v123, v123                               // 00000001C35C: 7EF60B7B
	v_cvt_f32_i32_e32 v124, v124                               // 00000001C360: 7EF80B7C
	v_cvt_f32_i32_e32 v125, v125                               // 00000001C364: 7EFA0B7D
	v_cvt_f32_i32_e32 v126, v126                               // 00000001C368: 7EFC0B7E
	v_cvt_f32_i32_e32 v127, v127                               // 00000001C36C: 7EFE0B7F
	v_mul_f32_e32 v112, v18, v112                              // 00000001C370: 0AE0E112
	v_mul_f32_e32 v113, v18, v113                              // 00000001C374: 0AE2E312
	v_mul_f32_e32 v114, v18, v114                              // 00000001C378: 0AE4E512
	v_mul_f32_e32 v115, v18, v115                              // 00000001C37C: 0AE6E712
	v_mul_f32_e32 v116, v18, v116                              // 00000001C380: 0AE8E912
	v_mul_f32_e32 v117, v18, v117                              // 00000001C384: 0AEAEB12
	v_mul_f32_e32 v118, v18, v118                              // 00000001C388: 0AECED12
	v_mul_f32_e32 v119, v18, v119                              // 00000001C38C: 0AEEEF12
	v_mul_f32_e32 v120, v18, v120                              // 00000001C390: 0AF0F112
	v_mul_f32_e32 v121, v18, v121                              // 00000001C394: 0AF2F312
	v_mul_f32_e32 v122, v18, v122                              // 00000001C398: 0AF4F512
	v_mul_f32_e32 v123, v18, v123                              // 00000001C39C: 0AF6F712
	v_mul_f32_e32 v124, v18, v124                              // 00000001C3A0: 0AF8F912
	v_mul_f32_e32 v125, v18, v125                              // 00000001C3A4: 0AFAFB12
	v_mul_f32_e32 v126, v18, v126                              // 00000001C3A8: 0AFCFD12
	v_mul_f32_e32 v127, v18, v127                              // 00000001C3AC: 0AFEFF12
	v_mul_f32_dpp v112, v248, v112 quad_perm:[0,0,0,0] row_mask:0xf bank_mask:0xf// 00000001C3B0: 0AE0E0FA FF0000F8
	v_mul_f32_dpp v113, v248, v113 quad_perm:[1,1,1,1] row_mask:0xf bank_mask:0xf// 00000001C3B8: 0AE2E2FA FF0055F8
	v_mul_f32_dpp v114, v248, v114 quad_perm:[2,2,2,2] row_mask:0xf bank_mask:0xf// 00000001C3C0: 0AE4E4FA FF00AAF8
	v_mul_f32_dpp v115, v248, v115 quad_perm:[3,3,3,3] row_mask:0xf bank_mask:0xf// 00000001C3C8: 0AE6E6FA FF00FFF8
	v_mul_f32_dpp v116, v249, v116 quad_perm:[0,0,0,0] row_mask:0xf bank_mask:0xf// 00000001C3D0: 0AE8E8FA FF0000F9
	v_mul_f32_dpp v117, v249, v117 quad_perm:[1,1,1,1] row_mask:0xf bank_mask:0xf// 00000001C3D8: 0AEAEAFA FF0055F9
	v_mul_f32_dpp v118, v249, v118 quad_perm:[2,2,2,2] row_mask:0xf bank_mask:0xf// 00000001C3E0: 0AECECFA FF00AAF9
	v_mul_f32_dpp v119, v249, v119 quad_perm:[3,3,3,3] row_mask:0xf bank_mask:0xf// 00000001C3E8: 0AEEEEFA FF00FFF9
	v_mul_f32_dpp v120, v250, v120 quad_perm:[0,0,0,0] row_mask:0xf bank_mask:0xf// 00000001C3F0: 0AF0F0FA FF0000FA
	v_mul_f32_dpp v121, v250, v121 quad_perm:[1,1,1,1] row_mask:0xf bank_mask:0xf// 00000001C3F8: 0AF2F2FA FF0055FA
	v_mul_f32_dpp v122, v250, v122 quad_perm:[2,2,2,2] row_mask:0xf bank_mask:0xf// 00000001C400: 0AF4F4FA FF00AAFA
	v_mul_f32_dpp v123, v250, v123 quad_perm:[3,3,3,3] row_mask:0xf bank_mask:0xf// 00000001C408: 0AF6F6FA FF00FFFA
	v_mul_f32_dpp v124, v251, v124 quad_perm:[0,0,0,0] row_mask:0xf bank_mask:0xf// 00000001C410: 0AF8F8FA FF0000FB
	v_mul_f32_dpp v125, v251, v125 quad_perm:[1,1,1,1] row_mask:0xf bank_mask:0xf// 00000001C418: 0AFAFAFA FF0055FB
	v_mul_f32_dpp v126, v251, v126 quad_perm:[2,2,2,2] row_mask:0xf bank_mask:0xf// 00000001C420: 0AFCFCFA FF00AAFB
	v_mul_f32_dpp v127, v251, v127 quad_perm:[3,3,3,3] row_mask:0xf bank_mask:0xf// 00000001C428: 0AFEFEFA FF00FFFB
	s_cmp_le_i32 s90, s89                                      // 00000001C430: BF05595A
	s_cbranch_scc1 label_68FF                                  // 00000001C434: BF850071
	v_mov_b32_e32 v66, 0xff800000                              // 00000001C438: 7E8402FF FF800000
	s_mov_b32 s60, s90                                         // 00000001C440: BEBC005A
	s_add_u32 s61, s89, 0xff                                   // 00000001C444: 803DFF59 000000FF
	v_mov_b32_e32 v64, s61                                     // 00000001C44C: 7E80023D
	v_lshrrev_b32_e32 v240, 4, v0                              // 00000001C450: 21E00084
	v_mul_i32_i24_e32 v240, 4, v240                            // 00000001C454: 0DE1E084
	v_add_u32_e32 v240, s60, v240                              // 00000001C458: 69E1E03C
	s_mov_b32 s61, 0                                           // 00000001C45C: BEBD0080
	s_mul_i32 s60, 16, s7                                      // 00000001C460: 923C0790
	v_sub_u32_e64 v240, v240, s61                              // 00000001C464: D13500F0 00007BF0
	v_add_u32_e32 v240, s60, v240                              // 00000001C46C: 69E1E03C
	v_add_u32_e32 v241, 1, v240                                // 00000001C470: 69E3E081
	v_add_u32_e32 v242, 2, v240                                // 00000001C474: 69E5E082
	v_add_u32_e32 v243, 3, v240                                // 00000001C478: 69E7E083
	v_cmp_le_u32_e64 s[40:41], v240, v64                       // 00000001C47C: D0CB0028 000281F0
	v_add_u32_e32 v240, 64, v240                               // 00000001C484: 69E1E0C0
	s_nop 0                                                    // 00000001C488: BF800000
	v_cndmask_b32_e64 v112, v66, v112, s[40:41]                // 00000001C48C: D1000070 00A2E142
	v_cmp_le_u32_e64 s[40:41], v241, v64                       // 00000001C494: D0CB0028 000281F1
	v_add_u32_e32 v241, 64, v241                               // 00000001C49C: 69E3E2C0
	s_nop 0                                                    // 00000001C4A0: BF800000
	v_cndmask_b32_e64 v113, v66, v113, s[40:41]                // 00000001C4A4: D1000071 00A2E342
	v_cmp_le_u32_e64 s[40:41], v242, v64                       // 00000001C4AC: D0CB0028 000281F2
	v_add_u32_e32 v242, 64, v242                               // 00000001C4B4: 69E5E4C0
	s_nop 0                                                    // 00000001C4B8: BF800000
	v_cndmask_b32_e64 v114, v66, v114, s[40:41]                // 00000001C4BC: D1000072 00A2E542
	v_cmp_le_u32_e64 s[40:41], v243, v64                       // 00000001C4C4: D0CB0028 000281F3
	v_add_u32_e32 v243, 64, v243                               // 00000001C4CC: 69E7E6C0
	s_nop 0                                                    // 00000001C4D0: BF800000
	v_cndmask_b32_e64 v115, v66, v115, s[40:41]                // 00000001C4D4: D1000073 00A2E742
	v_cmp_le_u32_e64 s[40:41], v240, v64                       // 00000001C4DC: D0CB0028 000281F0
	v_add_u32_e32 v240, 64, v240                               // 00000001C4E4: 69E1E0C0
	s_nop 0                                                    // 00000001C4E8: BF800000
	v_cndmask_b32_e64 v116, v66, v116, s[40:41]                // 00000001C4EC: D1000074 00A2E942
	v_cmp_le_u32_e64 s[40:41], v241, v64                       // 00000001C4F4: D0CB0028 000281F1
	v_add_u32_e32 v241, 64, v241                               // 00000001C4FC: 69E3E2C0
	s_nop 0                                                    // 00000001C500: BF800000
	v_cndmask_b32_e64 v117, v66, v117, s[40:41]                // 00000001C504: D1000075 00A2EB42
	v_cmp_le_u32_e64 s[40:41], v242, v64                       // 00000001C50C: D0CB0028 000281F2
	v_add_u32_e32 v242, 64, v242                               // 00000001C514: 69E5E4C0
	s_nop 0                                                    // 00000001C518: BF800000
	v_cndmask_b32_e64 v118, v66, v118, s[40:41]                // 00000001C51C: D1000076 00A2ED42
	v_cmp_le_u32_e64 s[40:41], v243, v64                       // 00000001C524: D0CB0028 000281F3
	v_add_u32_e32 v243, 64, v243                               // 00000001C52C: 69E7E6C0
	s_nop 0                                                    // 00000001C530: BF800000
	v_cndmask_b32_e64 v119, v66, v119, s[40:41]                // 00000001C534: D1000077 00A2EF42
	v_cmp_le_u32_e64 s[40:41], v240, v64                       // 00000001C53C: D0CB0028 000281F0
	v_add_u32_e32 v240, 64, v240                               // 00000001C544: 69E1E0C0
	s_nop 0                                                    // 00000001C548: BF800000
	v_cndmask_b32_e64 v120, v66, v120, s[40:41]                // 00000001C54C: D1000078 00A2F142
	v_cmp_le_u32_e64 s[40:41], v241, v64                       // 00000001C554: D0CB0028 000281F1
	v_add_u32_e32 v241, 64, v241                               // 00000001C55C: 69E3E2C0
	s_nop 0                                                    // 00000001C560: BF800000
	v_cndmask_b32_e64 v121, v66, v121, s[40:41]                // 00000001C564: D1000079 00A2F342
	v_cmp_le_u32_e64 s[40:41], v242, v64                       // 00000001C56C: D0CB0028 000281F2
	v_add_u32_e32 v242, 64, v242                               // 00000001C574: 69E5E4C0
	s_nop 0                                                    // 00000001C578: BF800000
	v_cndmask_b32_e64 v122, v66, v122, s[40:41]                // 00000001C57C: D100007A 00A2F542
	v_cmp_le_u32_e64 s[40:41], v243, v64                       // 00000001C584: D0CB0028 000281F3
	v_add_u32_e32 v243, 64, v243                               // 00000001C58C: 69E7E6C0
	s_nop 0                                                    // 00000001C590: BF800000
	v_cndmask_b32_e64 v123, v66, v123, s[40:41]                // 00000001C594: D100007B 00A2F742
	v_cmp_le_u32_e64 s[40:41], v240, v64                       // 00000001C59C: D0CB0028 000281F0
	v_add_u32_e32 v240, 64, v240                               // 00000001C5A4: 69E1E0C0
	s_nop 0                                                    // 00000001C5A8: BF800000
	v_cndmask_b32_e64 v124, v66, v124, s[40:41]                // 00000001C5AC: D100007C 00A2F942
	v_cmp_le_u32_e64 s[40:41], v241, v64                       // 00000001C5B4: D0CB0028 000281F1
	v_add_u32_e32 v241, 64, v241                               // 00000001C5BC: 69E3E2C0
	s_nop 0                                                    // 00000001C5C0: BF800000
	v_cndmask_b32_e64 v125, v66, v125, s[40:41]                // 00000001C5C4: D100007D 00A2FB42
	v_cmp_le_u32_e64 s[40:41], v242, v64                       // 00000001C5CC: D0CB0028 000281F2
	v_add_u32_e32 v242, 64, v242                               // 00000001C5D4: 69E5E4C0
	s_nop 0                                                    // 00000001C5D8: BF800000
	v_cndmask_b32_e64 v126, v66, v126, s[40:41]                // 00000001C5DC: D100007E 00A2FD42
	v_cmp_le_u32_e64 s[40:41], v243, v64                       // 00000001C5E4: D0CB0028 000281F3
	v_add_u32_e32 v243, 64, v243                               // 00000001C5EC: 69E7E6C0
	s_nop 0                                                    // 00000001C5F0: BF800000
	v_cndmask_b32_e64 v127, v66, v127, s[40:41]                // 00000001C5F4: D100007F 00A2FF42

000000000001c5fc <label_68FF>:
	s_and_b32 s60, s72, 0xff                                   // 00000001C5FC: 863CFF48 000000FF
	v_mov_b32_e32 v65, s60                                     // 00000001C604: 7E82023C
	v_lshrrev_b32_e32 v240, 4, v0                              // 00000001C608: 21E00084
	v_mul_i32_i24_e32 v240, 4, v240                            // 00000001C60C: 0DE1E084
	s_mul_i32 s60, s7, 16                                      // 00000001C610: 923C9007
	v_add_u32_e32 v240, s60, v240                              // 00000001C614: 69E1E03C
	v_add_u32_e32 v241, 1, v240                                // 00000001C618: 69E3E081
	v_add_u32_e32 v242, 2, v240                                // 00000001C61C: 69E5E082
	v_add_u32_e32 v243, 3, v240                                // 00000001C620: 69E7E083
	v_mov_b32_e32 v64, 0xff800000                              // 00000001C624: 7E8002FF FF800000
	v_cmp_lt_u32_e64 s[40:41], v240, v65                       // 00000001C62C: D0C90028 000283F0
	v_add_u32_e32 v240, 64, v240                               // 00000001C634: 69E1E0C0
	s_nop 0                                                    // 00000001C638: BF800000
	v_cndmask_b32_e64 v112, v64, v112, s[40:41]                // 00000001C63C: D1000070 00A2E140
	v_cmp_lt_u32_e64 s[40:41], v241, v65                       // 00000001C644: D0C90028 000283F1
	v_add_u32_e32 v241, 64, v241                               // 00000001C64C: 69E3E2C0
	s_nop 0                                                    // 00000001C650: BF800000
	v_cndmask_b32_e64 v113, v64, v113, s[40:41]                // 00000001C654: D1000071 00A2E340
	v_cmp_lt_u32_e64 s[40:41], v242, v65                       // 00000001C65C: D0C90028 000283F2
	v_add_u32_e32 v242, 64, v242                               // 00000001C664: 69E5E4C0
	s_nop 0                                                    // 00000001C668: BF800000
	v_cndmask_b32_e64 v114, v64, v114, s[40:41]                // 00000001C66C: D1000072 00A2E540
	v_cmp_lt_u32_e64 s[40:41], v243, v65                       // 00000001C674: D0C90028 000283F3
	v_add_u32_e32 v243, 64, v243                               // 00000001C67C: 69E7E6C0
	s_nop 0                                                    // 00000001C680: BF800000
	v_cndmask_b32_e64 v115, v64, v115, s[40:41]                // 00000001C684: D1000073 00A2E740
	v_cmp_lt_u32_e64 s[40:41], v240, v65                       // 00000001C68C: D0C90028 000283F0
	v_add_u32_e32 v240, 64, v240                               // 00000001C694: 69E1E0C0
	s_nop 0                                                    // 00000001C698: BF800000
	v_cndmask_b32_e64 v116, v64, v116, s[40:41]                // 00000001C69C: D1000074 00A2E940
	v_cmp_lt_u32_e64 s[40:41], v241, v65                       // 00000001C6A4: D0C90028 000283F1
	v_add_u32_e32 v241, 64, v241                               // 00000001C6AC: 69E3E2C0
	s_nop 0                                                    // 00000001C6B0: BF800000
	v_cndmask_b32_e64 v117, v64, v117, s[40:41]                // 00000001C6B4: D1000075 00A2EB40
	v_cmp_lt_u32_e64 s[40:41], v242, v65                       // 00000001C6BC: D0C90028 000283F2
	v_add_u32_e32 v242, 64, v242                               // 00000001C6C4: 69E5E4C0
	s_nop 0                                                    // 00000001C6C8: BF800000
	v_cndmask_b32_e64 v118, v64, v118, s[40:41]                // 00000001C6CC: D1000076 00A2ED40
	v_cmp_lt_u32_e64 s[40:41], v243, v65                       // 00000001C6D4: D0C90028 000283F3
	v_add_u32_e32 v243, 64, v243                               // 00000001C6DC: 69E7E6C0
	s_nop 0                                                    // 00000001C6E0: BF800000
	v_cndmask_b32_e64 v119, v64, v119, s[40:41]                // 00000001C6E4: D1000077 00A2EF40
	v_cmp_lt_u32_e64 s[40:41], v240, v65                       // 00000001C6EC: D0C90028 000283F0
	v_add_u32_e32 v240, 64, v240                               // 00000001C6F4: 69E1E0C0
	s_nop 0                                                    // 00000001C6F8: BF800000
	v_cndmask_b32_e64 v120, v64, v120, s[40:41]                // 00000001C6FC: D1000078 00A2F140
	v_cmp_lt_u32_e64 s[40:41], v241, v65                       // 00000001C704: D0C90028 000283F1
	v_add_u32_e32 v241, 64, v241                               // 00000001C70C: 69E3E2C0
	s_nop 0                                                    // 00000001C710: BF800000
	v_cndmask_b32_e64 v121, v64, v121, s[40:41]                // 00000001C714: D1000079 00A2F340
	v_cmp_lt_u32_e64 s[40:41], v242, v65                       // 00000001C71C: D0C90028 000283F2
	v_add_u32_e32 v242, 64, v242                               // 00000001C724: 69E5E4C0
	s_nop 0                                                    // 00000001C728: BF800000
	v_cndmask_b32_e64 v122, v64, v122, s[40:41]                // 00000001C72C: D100007A 00A2F540
	v_cmp_lt_u32_e64 s[40:41], v243, v65                       // 00000001C734: D0C90028 000283F3
	v_add_u32_e32 v243, 64, v243                               // 00000001C73C: 69E7E6C0
	s_nop 0                                                    // 00000001C740: BF800000
	v_cndmask_b32_e64 v123, v64, v123, s[40:41]                // 00000001C744: D100007B 00A2F740
	v_cmp_lt_u32_e64 s[40:41], v240, v65                       // 00000001C74C: D0C90028 000283F0
	v_add_u32_e32 v240, 64, v240                               // 00000001C754: 69E1E0C0
	s_nop 0                                                    // 00000001C758: BF800000
	v_cndmask_b32_e64 v124, v64, v124, s[40:41]                // 00000001C75C: D100007C 00A2F940
	v_cmp_lt_u32_e64 s[40:41], v241, v65                       // 00000001C764: D0C90028 000283F1
	v_add_u32_e32 v241, 64, v241                               // 00000001C76C: 69E3E2C0
	s_nop 0                                                    // 00000001C770: BF800000
	v_cndmask_b32_e64 v125, v64, v125, s[40:41]                // 00000001C774: D100007D 00A2FB40
	v_cmp_lt_u32_e64 s[40:41], v242, v65                       // 00000001C77C: D0C90028 000283F2
	v_add_u32_e32 v242, 64, v242                               // 00000001C784: 69E5E4C0
	s_nop 0                                                    // 00000001C788: BF800000
	v_cndmask_b32_e64 v126, v64, v126, s[40:41]                // 00000001C78C: D100007E 00A2FD40
	v_cmp_lt_u32_e64 s[40:41], v243, v65                       // 00000001C794: D0C90028 000283F3
	v_add_u32_e32 v243, 64, v243                               // 00000001C79C: 69E7E6C0
	s_nop 0                                                    // 00000001C7A0: BF800000
	v_cndmask_b32_e64 v127, v64, v127, s[40:41]                // 00000001C7A4: D100007F 00A2FF40
	v_mov_b32_e32 v48, v112                                    // 00000001C7AC: 7E600370
	v_max3_f32 v48, v112, v113, v48                            // 00000001C7B0: D1D30030 04C2E370
	v_max3_f32 v48, v114, v115, v48                            // 00000001C7B8: D1D30030 04C2E772
	v_max3_f32 v48, v116, v117, v48                            // 00000001C7C0: D1D30030 04C2EB74
	v_max3_f32 v48, v118, v119, v48                            // 00000001C7C8: D1D30030 04C2EF76
	v_max3_f32 v48, v120, v121, v48                            // 00000001C7D0: D1D30030 04C2F378
	v_max3_f32 v48, v122, v123, v48                            // 00000001C7D8: D1D30030 04C2F77A
	v_max3_f32 v48, v124, v125, v48                            // 00000001C7E0: D1D30030 04C2FB7C
	v_max3_f32 v48, v126, v127, v48                            // 00000001C7E8: D1D30030 04C2FF7E
	ds_write_b32 v8, v48 offset:16896                          // 00000001C7F0: D81A4200 00003008
	v_mul_u32_u24_dpp v64, v16, v54 row_newbcast:1 row_mask:0xf bank_mask:0xf// 00000001C7F8: 10806CFA FF015110
	v_mul_u32_u24_dpp v65, v16, v54 row_newbcast:5 row_mask:0xf bank_mask:0xf// 00000001C800: 10826CFA FF015510
	v_mul_u32_u24_dpp v66, v16, v54 row_newbcast:9 row_mask:0xf bank_mask:0xf// 00000001C808: 10846CFA FF015910
	v_mul_u32_u24_dpp v67, v16, v54 row_newbcast:13 row_mask:0xf bank_mask:0xf// 00000001C810: 10866CFA FF015D10
	v_add_u32_e32 v30, v64, v6                                 // 00000001C818: 683C0D40
	v_add_u32_e32 v31, v65, v6                                 // 00000001C81C: 683E0D41
	v_add_u32_e32 v32, v66, v6                                 // 00000001C820: 68400D42
	v_add_u32_e32 v33, v67, v6                                 // 00000001C824: 68420D43
	v_mul_f32_e32 v208, v49, v208                              // 00000001C828: 0BA1A131
	v_mul_f32_e32 v209, v49, v209                              // 00000001C82C: 0BA3A331
	v_mul_f32_e32 v210, v49, v210                              // 00000001C830: 0BA5A531
	v_mul_f32_e32 v211, v49, v211                              // 00000001C834: 0BA7A731
	v_mul_f32_e32 v212, v49, v212                              // 00000001C838: 0BA9A931
	v_mul_f32_e32 v213, v49, v213                              // 00000001C83C: 0BABAB31
	v_mul_f32_e32 v214, v49, v214                              // 00000001C840: 0BADAD31
	v_mul_f32_e32 v215, v49, v215                              // 00000001C844: 0BAFAF31
	s_waitcnt lgkmcnt(0)                                       // 00000001C848: BF8CC07F
	s_barrier                                                  // 00000001C84C: BF8A0000
	ds_read_b32 v64, v7 offset:16896                           // 00000001C850: D86C4200 40000007
	ds_read_b32 v65, v7 offset:16960                           // 00000001C858: D86C4240 41000007
	ds_read_b32 v66, v7 offset:17024                           // 00000001C860: D86C4280 42000007
	ds_read_b32 v67, v7 offset:17088                           // 00000001C868: D86C42C0 43000007
	ds_read_b32 v68, v7 offset:17152                           // 00000001C870: D86C4300 44000007
	ds_read_b32 v69, v7 offset:17216                           // 00000001C878: D86C4340 45000007
	ds_read_b32 v70, v7 offset:17280                           // 00000001C880: D86C4380 46000007
	ds_read_b32 v71, v7 offset:17344                           // 00000001C888: D86C43C0 47000007
	ds_read_b32 v72, v7 offset:17408                           // 00000001C890: D86C4400 48000007
	ds_read_b32 v73, v7 offset:17472                           // 00000001C898: D86C4440 49000007
	ds_read_b32 v74, v7 offset:17536                           // 00000001C8A0: D86C4480 4A000007
	ds_read_b32 v75, v7 offset:17600                           // 00000001C8A8: D86C44C0 4B000007
	ds_read_b32 v76, v7 offset:17664                           // 00000001C8B0: D86C4500 4C000007
	ds_read_b32 v77, v7 offset:17728                           // 00000001C8B8: D86C4540 4D000007
	ds_read_b32 v78, v7 offset:17792                           // 00000001C8C0: D86C4580 4E000007
	ds_read_b32 v79, v7 offset:17856                           // 00000001C8C8: D86C45C0 4F000007
	v_cvt_f32_i32_e32 v176, v176                               // 00000001C8D0: 7F600BB0
	v_cvt_f32_i32_e32 v177, v177                               // 00000001C8D4: 7F620BB1
	v_cvt_f32_i32_e32 v178, v178                               // 00000001C8D8: 7F640BB2
	v_cvt_f32_i32_e32 v179, v179                               // 00000001C8DC: 7F660BB3
	v_cvt_f32_i32_e32 v180, v180                               // 00000001C8E0: 7F680BB4
	v_cvt_f32_i32_e32 v181, v181                               // 00000001C8E4: 7F6A0BB5
	v_cvt_f32_i32_e32 v182, v182                               // 00000001C8E8: 7F6C0BB6
	v_cvt_f32_i32_e32 v183, v183                               // 00000001C8EC: 7F6E0BB7
	v_mul_f32_e32 v176, v44, v176                              // 00000001C8F0: 0B61612C
	v_mul_f32_e32 v177, v44, v177                              // 00000001C8F4: 0B63632C
	v_mul_f32_e32 v178, v44, v178                              // 00000001C8F8: 0B65652C
	v_mul_f32_e32 v179, v44, v179                              // 00000001C8FC: 0B67672C
	v_mul_f32_e32 v180, v44, v180                              // 00000001C900: 0B69692C
	v_mul_f32_e32 v181, v44, v181                              // 00000001C904: 0B6B6B2C
	v_mul_f32_e32 v182, v44, v182                              // 00000001C908: 0B6D6D2C
	v_mul_f32_e32 v183, v44, v183                              // 00000001C90C: 0B6F6F2C
	s_waitcnt lgkmcnt(0)                                       // 00000001C910: BF8CC07F
	v_max3_f32 v48, v64, v65, v48                              // 00000001C914: D1D30030 04C28340
	v_max3_f32 v48, v66, v67, v48                              // 00000001C91C: D1D30030 04C28742
	v_max3_f32 v48, v68, v69, v48                              // 00000001C924: D1D30030 04C28B44
	v_max3_f32 v48, v70, v71, v48                              // 00000001C92C: D1D30030 04C28F46
	v_max3_f32 v48, v72, v73, v48                              // 00000001C934: D1D30030 04C29348
	v_max3_f32 v48, v74, v75, v48                              // 00000001C93C: D1D30030 04C2974A
	v_max3_f32 v48, v76, v77, v48                              // 00000001C944: D1D30030 04C29B4C
	v_max3_f32 v48, v78, v79, v48                              // 00000001C94C: D1D30030 04C29F4E
	v_mov_b32_e32 v64, 0xff800000                              // 00000001C954: 7E8002FF FF800000
	v_cmp_eq_u32_e64 s[40:41], v64, v11                        // 00000001C95C: D0CA0028 00021740
	s_nop 1                                                    // 00000001C964: BF800001
	v_max_f32_e32 v15, v48, v11                                // 00000001C968: 161E1730
	v_mul_f32_e32 v53, s64, v15                                // 00000001C96C: 0A6A1E40
	v_fma_f32 v112, v112, s64, -v53                            // 00000001C970: D1CB0070 84D48170
	v_fma_f32 v113, v113, s64, -v53                            // 00000001C978: D1CB0071 84D48171
	v_fma_f32 v114, v114, s64, -v53                            // 00000001C980: D1CB0072 84D48172
	v_fma_f32 v115, v115, s64, -v53                            // 00000001C988: D1CB0073 84D48173
	v_fma_f32 v116, v116, s64, -v53                            // 00000001C990: D1CB0074 84D48174
	v_fma_f32 v117, v117, s64, -v53                            // 00000001C998: D1CB0075 84D48175
	v_fma_f32 v118, v118, s64, -v53                            // 00000001C9A0: D1CB0076 84D48176
	v_fma_f32 v119, v119, s64, -v53                            // 00000001C9A8: D1CB0077 84D48177
	v_fma_f32 v120, v120, s64, -v53                            // 00000001C9B0: D1CB0078 84D48178
	v_fma_f32 v121, v121, s64, -v53                            // 00000001C9B8: D1CB0079 84D48179
	v_fma_f32 v122, v122, s64, -v53                            // 00000001C9C0: D1CB007A 84D4817A
	v_fma_f32 v123, v123, s64, -v53                            // 00000001C9C8: D1CB007B 84D4817B
	v_fma_f32 v124, v124, s64, -v53                            // 00000001C9D0: D1CB007C 84D4817C
	v_fma_f32 v125, v125, s64, -v53                            // 00000001C9D8: D1CB007D 84D4817D
	v_fma_f32 v126, v126, s64, -v53                            // 00000001C9E0: D1CB007E 84D4817E
	v_fma_f32 v127, v127, s64, -v53                            // 00000001C9E8: D1CB007F 84D4817F
	v_exp_f32_e32 v112, v112                                   // 00000001C9F0: 7EE04170
	v_exp_f32_e32 v113, v113                                   // 00000001C9F4: 7EE24171
	v_exp_f32_e32 v114, v114                                   // 00000001C9F8: 7EE44172
	v_exp_f32_e32 v115, v115                                   // 00000001C9FC: 7EE64173
	v_exp_f32_e32 v116, v116                                   // 00000001CA00: 7EE84174
	v_exp_f32_e32 v117, v117                                   // 00000001CA04: 7EEA4175
	v_exp_f32_e32 v118, v118                                   // 00000001CA08: 7EEC4176
	v_exp_f32_e32 v119, v119                                   // 00000001CA0C: 7EEE4177
	v_exp_f32_e32 v120, v120                                   // 00000001CA10: 7EF04178
	v_exp_f32_e32 v121, v121                                   // 00000001CA14: 7EF24179
	v_exp_f32_e32 v122, v122                                   // 00000001CA18: 7EF4417A
	v_exp_f32_e32 v123, v123                                   // 00000001CA1C: 7EF6417B
	v_exp_f32_e32 v124, v124                                   // 00000001CA20: 7EF8417C
	v_exp_f32_e32 v125, v125                                   // 00000001CA24: 7EFA417D
	v_exp_f32_e32 v126, v126                                   // 00000001CA28: 7EFC417E
	v_exp_f32_e32 v127, v127                                   // 00000001CA2C: 7EFE417F
	v_mul_f32_dpp v240, v252, v112 quad_perm:[0,0,0,0] row_mask:0xf bank_mask:0xf// 00000001CA30: 0BE0E0FA FF0000FC
	v_mul_f32_dpp v241, v252, v113 quad_perm:[1,1,1,1] row_mask:0xf bank_mask:0xf// 00000001CA38: 0BE2E2FA FF0055FC
	v_mul_f32_dpp v242, v252, v114 quad_perm:[2,2,2,2] row_mask:0xf bank_mask:0xf// 00000001CA40: 0BE4E4FA FF00AAFC
	v_mul_f32_dpp v243, v252, v115 quad_perm:[3,3,3,3] row_mask:0xf bank_mask:0xf// 00000001CA48: 0BE6E6FA FF00FFFC
	v_mul_f32_dpp v244, v253, v116 quad_perm:[0,0,0,0] row_mask:0xf bank_mask:0xf// 00000001CA50: 0BE8E8FA FF0000FD
	v_mul_f32_dpp v245, v253, v117 quad_perm:[1,1,1,1] row_mask:0xf bank_mask:0xf// 00000001CA58: 0BEAEAFA FF0055FD
	v_mul_f32_dpp v246, v253, v118 quad_perm:[2,2,2,2] row_mask:0xf bank_mask:0xf// 00000001CA60: 0BECECFA FF00AAFD
	v_mul_f32_dpp v247, v253, v119 quad_perm:[3,3,3,3] row_mask:0xf bank_mask:0xf// 00000001CA68: 0BEEEEFA FF00FFFD
	v_mul_f32_dpp v248, v254, v120 quad_perm:[0,0,0,0] row_mask:0xf bank_mask:0xf// 00000001CA70: 0BF0F0FA FF0000FE
	v_mul_f32_dpp v249, v254, v121 quad_perm:[1,1,1,1] row_mask:0xf bank_mask:0xf// 00000001CA78: 0BF2F2FA FF0055FE
	v_mul_f32_dpp v250, v254, v122 quad_perm:[2,2,2,2] row_mask:0xf bank_mask:0xf// 00000001CA80: 0BF4F4FA FF00AAFE
	v_mul_f32_dpp v251, v254, v123 quad_perm:[3,3,3,3] row_mask:0xf bank_mask:0xf// 00000001CA88: 0BF6F6FA FF00FFFE
	v_mul_f32_dpp v252, v255, v124 quad_perm:[0,0,0,0] row_mask:0xf bank_mask:0xf// 00000001CA90: 0BF8F8FA FF0000FF
	v_mul_f32_dpp v253, v255, v125 quad_perm:[1,1,1,1] row_mask:0xf bank_mask:0xf// 00000001CA98: 0BFAFAFA FF0055FF
	v_mul_f32_dpp v254, v255, v126 quad_perm:[2,2,2,2] row_mask:0xf bank_mask:0xf// 00000001CAA0: 0BFCFCFA FF00AAFF
	v_mul_f32_dpp v255, v255, v127 quad_perm:[3,3,3,3] row_mask:0xf bank_mask:0xf// 00000001CAA8: 0BFEFEFA FF00FFFF
	v_mov_b32_e32 v48, 0x358637bd                              // 00000001CAB0: 7E6002FF 358637BD
	v_max3_f32 v48, |v240|, |v241|, v48                        // 00000001CAB8: D1D30330 04C3E3F0
	v_max3_f32 v48, |v242|, |v243|, v48                        // 00000001CAC0: D1D30330 04C3E7F2
	v_max3_f32 v48, |v244|, |v245|, v48                        // 00000001CAC8: D1D30330 04C3EBF4
	v_max3_f32 v48, |v246|, |v247|, v48                        // 00000001CAD0: D1D30330 04C3EFF6
	v_max3_f32 v48, |v248|, |v249|, v48                        // 00000001CAD8: D1D30330 04C3F3F8
	v_max3_f32 v48, |v250|, |v251|, v48                        // 00000001CAE0: D1D30330 04C3F7FA
	v_max3_f32 v48, |v252|, |v253|, v48                        // 00000001CAE8: D1D30330 04C3FBFC
	v_max3_f32 v48, |v254|, |v255|, v48                        // 00000001CAF0: D1D30330 04C3FFFE
	ds_write_b32 v8, v48 offset:20992                          // 00000001CAF8: D81A5200 00003008
	v_sub_f32_e32 v49, v11, v15                                // 00000001CB00: 04621F0B
	v_cndmask_b32_e64 v49, v49, 0, s[40:41]                    // 00000001CB04: D1000031 00A10131
	v_mov_b32_e32 v11, v15                                     // 00000001CB0C: 7E16030F
	v_mul_f32_e32 v49, s64, v49                                // 00000001CB10: 0A626240
	v_exp_f32_e32 v49, v49                                     // 00000001CB14: 7E624131
	s_waitcnt lgkmcnt(0)                                       // 00000001CB18: BF8CC07F
	s_barrier                                                  // 00000001CB1C: BF8A0000
	ds_read_b32 v64, v7 offset:20992                           // 00000001CB20: D86C5200 40000007
	ds_read_b32 v65, v7 offset:21056                           // 00000001CB28: D86C5240 41000007
	ds_read_b32 v66, v7 offset:21120                           // 00000001CB30: D86C5280 42000007
	ds_read_b32 v67, v7 offset:21184                           // 00000001CB38: D86C52C0 43000007
	ds_read_b32 v68, v7 offset:21248                           // 00000001CB40: D86C5300 44000007
	ds_read_b32 v69, v7 offset:21312                           // 00000001CB48: D86C5340 45000007
	ds_read_b32 v70, v7 offset:21376                           // 00000001CB50: D86C5380 46000007
	ds_read_b32 v71, v7 offset:21440                           // 00000001CB58: D86C53C0 47000007
	ds_read_b32 v72, v7 offset:21504                           // 00000001CB60: D86C5400 48000007
	ds_read_b32 v73, v7 offset:21568                           // 00000001CB68: D86C5440 49000007
	ds_read_b32 v74, v7 offset:21632                           // 00000001CB70: D86C5480 4A000007
	ds_read_b32 v75, v7 offset:21696                           // 00000001CB78: D86C54C0 4B000007
	ds_read_b32 v76, v7 offset:21760                           // 00000001CB80: D86C5500 4C000007
	ds_read_b32 v77, v7 offset:21824                           // 00000001CB88: D86C5540 4D000007
	ds_read_b32 v78, v7 offset:21888                           // 00000001CB90: D86C5580 4E000007
	ds_read_b32 v79, v7 offset:21952                           // 00000001CB98: D86C55C0 4F000007
	v_mul_f32_e32 v38, v49, v38                                // 00000001CBA0: 0A4C4D31
	v_mov_b32_e32 v15, v112                                    // 00000001CBA4: 7E1E0370
	v_add_f32_e32 v15, v113, v15                               // 00000001CBA8: 021E1F71
	v_add_f32_e32 v15, v114, v15                               // 00000001CBAC: 021E1F72
	v_add_f32_e32 v15, v115, v15                               // 00000001CBB0: 021E1F73
	v_add_f32_e32 v15, v116, v15                               // 00000001CBB4: 021E1F74
	v_add_f32_e32 v15, v117, v15                               // 00000001CBB8: 021E1F75
	v_add_f32_e32 v15, v118, v15                               // 00000001CBBC: 021E1F76
	v_add_f32_e32 v15, v119, v15                               // 00000001CBC0: 021E1F77
	v_add_f32_e32 v15, v120, v15                               // 00000001CBC4: 021E1F78
	v_add_f32_e32 v15, v121, v15                               // 00000001CBC8: 021E1F79
	v_add_f32_e32 v15, v122, v15                               // 00000001CBCC: 021E1F7A
	v_add_f32_e32 v15, v123, v15                               // 00000001CBD0: 021E1F7B
	v_add_f32_e32 v15, v124, v15                               // 00000001CBD4: 021E1F7C
	v_add_f32_e32 v15, v125, v15                               // 00000001CBD8: 021E1F7D
	v_add_f32_e32 v15, v126, v15                               // 00000001CBDC: 021E1F7E
	v_add_f32_e32 v15, v127, v15                               // 00000001CBE0: 021E1F7F
	v_add_f32_e32 v38, v15, v38                                // 00000001CBE4: 024C4D0F
	s_waitcnt lgkmcnt(0)                                       // 00000001CBE8: BF8CC07F
	v_max3_f32 v48, |v64|, |v65|, v48                          // 00000001CBEC: D1D30330 04C28340
	v_max3_f32 v48, |v66|, |v67|, v48                          // 00000001CBF4: D1D30330 04C28742
	v_max3_f32 v48, |v68|, |v69|, v48                          // 00000001CBFC: D1D30330 04C28B44
	v_max3_f32 v48, |v70|, |v71|, v48                          // 00000001CC04: D1D30330 04C28F46
	v_max3_f32 v48, |v72|, |v73|, v48                          // 00000001CC0C: D1D30330 04C29348
	v_max3_f32 v48, |v74|, |v75|, v48                          // 00000001CC14: D1D30330 04C2974A
	v_max3_f32 v48, |v76|, |v77|, v48                          // 00000001CC1C: D1D30330 04C29B4C
	v_max3_f32 v48, |v78|, |v79|, v48                          // 00000001CC24: D1D30330 04C29F4E
	s_nop 2                                                    // 00000001CC2C: BF800002
	v_rcp_f32_e32 v48, v48                                     // 00000001CC30: 7E604530
	s_nop 1                                                    // 00000001CC34: BF800001
	v_mul_f32_e32 v48, 0x42fe0000, v48                         // 00000001CC38: 0A6060FF 42FE0000
	v_mul_f32_e32 v112, v48, v240                              // 00000001CC40: 0AE1E130
	v_mul_f32_e32 v113, v48, v241                              // 00000001CC44: 0AE3E330
	v_mul_f32_e32 v114, v48, v242                              // 00000001CC48: 0AE5E530
	v_mul_f32_e32 v115, v48, v243                              // 00000001CC4C: 0AE7E730
	v_mul_f32_e32 v116, v48, v244                              // 00000001CC50: 0AE9E930
	v_mul_f32_e32 v117, v48, v245                              // 00000001CC54: 0AEBEB30
	v_mul_f32_e32 v118, v48, v246                              // 00000001CC58: 0AEDED30
	v_mul_f32_e32 v119, v48, v247                              // 00000001CC5C: 0AEFEF30
	v_mul_f32_e32 v120, v48, v248                              // 00000001CC60: 0AF1F130
	v_mul_f32_e32 v121, v48, v249                              // 00000001CC64: 0AF3F330
	v_mul_f32_e32 v122, v48, v250                              // 00000001CC68: 0AF5F530
	v_mul_f32_e32 v123, v48, v251                              // 00000001CC6C: 0AF7F730
	v_mul_f32_e32 v124, v48, v252                              // 00000001CC70: 0AF9F930
	v_mul_f32_e32 v125, v48, v253                              // 00000001CC74: 0AFBFB30
	v_mul_f32_e32 v126, v48, v254                              // 00000001CC78: 0AFDFD30
	v_mul_f32_e32 v127, v48, v255                              // 00000001CC7C: 0AFFFF30
	v_cvt_i32_f32_e32 v112, v112                               // 00000001CC80: 7EE01170
	v_cvt_i32_f32_e32 v113, v113                               // 00000001CC84: 7EE21171
	v_cvt_i32_f32_e32 v114, v114                               // 00000001CC88: 7EE41172
	v_cvt_i32_f32_e32 v115, v115                               // 00000001CC8C: 7EE61173
	v_cvt_i32_f32_e32 v116, v116                               // 00000001CC90: 7EE81174
	v_cvt_i32_f32_e32 v117, v117                               // 00000001CC94: 7EEA1175
	v_cvt_i32_f32_e32 v118, v118                               // 00000001CC98: 7EEC1176
	v_cvt_i32_f32_e32 v119, v119                               // 00000001CC9C: 7EEE1177
	v_cvt_i32_f32_e32 v120, v120                               // 00000001CCA0: 7EF01178
	v_cvt_i32_f32_e32 v121, v121                               // 00000001CCA4: 7EF21179
	v_cvt_i32_f32_e32 v122, v122                               // 00000001CCA8: 7EF4117A
	v_cvt_i32_f32_e32 v123, v123                               // 00000001CCAC: 7EF6117B
	v_cvt_i32_f32_e32 v124, v124                               // 00000001CCB0: 7EF8117C
	v_cvt_i32_f32_e32 v125, v125                               // 00000001CCB4: 7EFA117D
	v_cvt_i32_f32_e32 v126, v126                               // 00000001CCB8: 7EFC117E
	v_cvt_i32_f32_e32 v127, v127                               // 00000001CCBC: 7EFE117F
	v_perm_b32 v112, v113, v112, s53                           // 00000001CCC0: D1ED0070 00D6E171
	v_perm_b32 v112, v114, v112, s54                           // 00000001CCC8: D1ED0070 00DAE172
	v_perm_b32 v112, v115, v112, s55                           // 00000001CCD0: D1ED0070 00DEE173
	v_perm_b32 v113, v117, v116, s53                           // 00000001CCD8: D1ED0071 00D6E975
	v_perm_b32 v113, v118, v113, s54                           // 00000001CCE0: D1ED0071 00DAE376
	v_perm_b32 v113, v119, v113, s55                           // 00000001CCE8: D1ED0071 00DEE377
	v_perm_b32 v114, v121, v120, s53                           // 00000001CCF0: D1ED0072 00D6F179
	v_perm_b32 v114, v122, v114, s54                           // 00000001CCF8: D1ED0072 00DAE57A
	v_perm_b32 v114, v123, v114, s55                           // 00000001CD00: D1ED0072 00DEE57B
	v_perm_b32 v115, v125, v124, s53                           // 00000001CD08: D1ED0073 00D6F97D
	v_perm_b32 v115, v126, v115, s54                           // 00000001CD10: D1ED0073 00DAE77E
	v_perm_b32 v115, v127, v115, s55                           // 00000001CD18: D1ED0073 00DEE77F
	ds_write_b32 v10, v112 offset:25088                        // 00000001CD20: D81A6200 0000700A
	ds_write_b32 v10, v113 offset:26112                        // 00000001CD28: D81A6600 0000710A
	ds_write_b32 v10, v114 offset:27136                        // 00000001CD30: D81A6A00 0000720A
	ds_write_b32 v10, v115 offset:28160                        // 00000001CD38: D81A6E00 0000730A
	v_add_f32_e32 v208, v208, v176                             // 00000001CD40: 03A161D0
	v_add_f32_e32 v209, v209, v177                             // 00000001CD44: 03A363D1
	v_add_f32_e32 v210, v210, v178                             // 00000001CD48: 03A565D2
	v_add_f32_e32 v211, v211, v179                             // 00000001CD4C: 03A767D3
	v_add_f32_e32 v212, v212, v180                             // 00000001CD50: 03A969D4
	v_add_f32_e32 v213, v213, v181                             // 00000001CD54: 03AB6BD5
	v_add_f32_e32 v214, v214, v182                             // 00000001CD58: 03AD6DD6
	v_add_f32_e32 v215, v215, v183                             // 00000001CD5C: 03AF6FD7
	v_rcp_f32_e32 v44, v48                                     // 00000001CD60: 7E584530
	s_waitcnt lgkmcnt(0)                                       // 00000001CD64: BF8CC07F
	s_barrier                                                  // 00000001CD68: BF8A0000
	ds_read_b64 v[112:113], v9 offset:25088                    // 00000001CD6C: D8EC6200 70000009
	ds_read_b64 v[114:115], v9 offset:25216                    // 00000001CD74: D8EC6280 72000009
	ds_read_b64 v[116:117], v9 offset:26112                    // 00000001CD7C: D8EC6600 74000009
	ds_read_b64 v[118:119], v9 offset:26240                    // 00000001CD84: D8EC6680 76000009
	ds_read_b64 v[120:121], v9 offset:27136                    // 00000001CD8C: D8EC6A00 78000009
	ds_read_b64 v[122:123], v9 offset:27264                    // 00000001CD94: D8EC6A80 7A000009
	ds_read_b64 v[124:125], v9 offset:28160                    // 00000001CD9C: D8EC6E00 7C000009
	ds_read_b64 v[126:127], v9 offset:28288                    // 00000001CDA4: D8EC6E80 7E000009
	v_mov_b32_dpp v64, v43 row_shr:4 row_mask:0xf bank_mask:0xf// 00000001CDAC: 7E8002FA FF01142B
	v_mov_b32_dpp v65, v43 row_shl:4 row_mask:0xf bank_mask:0xf// 00000001CDB4: 7E8202FA FF01042B
	v_cndmask_b32_e64 v248, v43, v64, s[44:45]                 // 00000001CDBC: D10000F8 00B2812B
	v_cndmask_b32_e64 v249, v65, v43, s[44:45]                 // 00000001CDC4: D10000F9 00B25741
	v_mov_b32_dpp v64, v248 row_shr:8 row_mask:0xf bank_mask:0xf// 00000001CDCC: 7E8002FA FF0118F8
	v_mov_b32_dpp v65, v248 row_shl:8 row_mask:0xf bank_mask:0xf// 00000001CDD4: 7E8202FA FF0108F8
	v_mov_b32_dpp v66, v249 row_shr:8 row_mask:0xf bank_mask:0xf// 00000001CDDC: 7E8402FA FF0118F9
	v_mov_b32_dpp v67, v249 row_shl:8 row_mask:0xf bank_mask:0xf// 00000001CDE4: 7E8602FA FF0108F9
	v_mov_b32_e32 v68, v248                                    // 00000001CDEC: 7E8803F8
	v_mov_b32_e32 v69, v249                                    // 00000001CDF0: 7E8A03F9
	v_cndmask_b32_e64 v248, v68, v64, s[42:43]                 // 00000001CDF4: D10000F8 00AA8144
	v_cndmask_b32_e64 v250, v68, v65, s[78:79]                 // 00000001CDFC: D10000FA 013A8344
	v_cndmask_b32_e64 v249, v69, v66, s[42:43]                 // 00000001CE04: D10000F9 00AA8545
	v_cndmask_b32_e64 v251, v69, v67, s[78:79]                 // 00000001CE0C: D10000FB 013A8745
	v_mov_b32_dpp v64, v58 row_shr:4 row_mask:0xf bank_mask:0xf// 00000001CE14: 7E8002FA FF01143A
	v_mov_b32_dpp v65, v58 row_shl:4 row_mask:0xf bank_mask:0xf// 00000001CE1C: 7E8202FA FF01043A
	v_cndmask_b32_e64 v252, v58, v64, s[44:45]                 // 00000001CE24: D10000FC 00B2813A
	v_cndmask_b32_e64 v253, v65, v58, s[44:45]                 // 00000001CE2C: D10000FD 00B27541
	v_mov_b32_dpp v64, v252 row_shr:8 row_mask:0xf bank_mask:0xf// 00000001CE34: 7E8002FA FF0118FC
	v_mov_b32_dpp v65, v252 row_shl:8 row_mask:0xf bank_mask:0xf// 00000001CE3C: 7E8202FA FF0108FC
	v_mov_b32_dpp v66, v253 row_shr:8 row_mask:0xf bank_mask:0xf// 00000001CE44: 7E8402FA FF0118FD
	v_mov_b32_dpp v67, v253 row_shl:8 row_mask:0xf bank_mask:0xf// 00000001CE4C: 7E8602FA FF0108FD
	v_mov_b32_e32 v68, v252                                    // 00000001CE54: 7E8803FC
	v_mov_b32_e32 v69, v253                                    // 00000001CE58: 7E8A03FD
	v_cndmask_b32_e64 v252, v68, v64, s[42:43]                 // 00000001CE5C: D10000FC 00AA8144
	v_cndmask_b32_e64 v254, v68, v65, s[78:79]                 // 00000001CE64: D10000FE 013A8344
	v_cndmask_b32_e64 v253, v69, v66, s[42:43]                 // 00000001CE6C: D10000FD 00AA8545
	v_cndmask_b32_e64 v255, v69, v67, s[78:79]                 // 00000001CE74: D10000FF 013A8745
	v_cvt_f32_i32_e32 v128, v128                               // 00000001CE7C: 7F000B80
	v_cvt_f32_i32_e32 v129, v129                               // 00000001CE80: 7F020B81
	v_cvt_f32_i32_e32 v130, v130                               // 00000001CE84: 7F040B82
	v_cvt_f32_i32_e32 v131, v131                               // 00000001CE88: 7F060B83
	v_cvt_f32_i32_e32 v132, v132                               // 00000001CE8C: 7F080B84
	v_cvt_f32_i32_e32 v133, v133                               // 00000001CE90: 7F0A0B85
	v_cvt_f32_i32_e32 v134, v134                               // 00000001CE94: 7F0C0B86
	v_cvt_f32_i32_e32 v135, v135                               // 00000001CE98: 7F0E0B87
	v_cvt_f32_i32_e32 v136, v136                               // 00000001CE9C: 7F100B88
	v_cvt_f32_i32_e32 v137, v137                               // 00000001CEA0: 7F120B89
	v_cvt_f32_i32_e32 v138, v138                               // 00000001CEA4: 7F140B8A
	v_cvt_f32_i32_e32 v139, v139                               // 00000001CEA8: 7F160B8B
	v_cvt_f32_i32_e32 v140, v140                               // 00000001CEAC: 7F180B8C
	v_cvt_f32_i32_e32 v141, v141                               // 00000001CEB0: 7F1A0B8D
	v_cvt_f32_i32_e32 v142, v142                               // 00000001CEB4: 7F1C0B8E
	v_cvt_f32_i32_e32 v143, v143                               // 00000001CEB8: 7F1E0B8F
	v_mul_f32_e32 v128, v19, v128                              // 00000001CEBC: 0B010113
	v_mul_f32_e32 v129, v19, v129                              // 00000001CEC0: 0B030313
	v_mul_f32_e32 v130, v19, v130                              // 00000001CEC4: 0B050513
	v_mul_f32_e32 v131, v19, v131                              // 00000001CEC8: 0B070713
	v_mul_f32_e32 v132, v19, v132                              // 00000001CECC: 0B090913
	v_mul_f32_e32 v133, v19, v133                              // 00000001CED0: 0B0B0B13
	v_mul_f32_e32 v134, v19, v134                              // 00000001CED4: 0B0D0D13
	v_mul_f32_e32 v135, v19, v135                              // 00000001CED8: 0B0F0F13
	v_mul_f32_e32 v136, v19, v136                              // 00000001CEDC: 0B111113
	v_mul_f32_e32 v137, v19, v137                              // 00000001CEE0: 0B131313
	v_mul_f32_e32 v138, v19, v138                              // 00000001CEE4: 0B151513
	v_mul_f32_e32 v139, v19, v139                              // 00000001CEE8: 0B171713
	v_mul_f32_e32 v140, v19, v140                              // 00000001CEEC: 0B191913
	v_mul_f32_e32 v141, v19, v141                              // 00000001CEF0: 0B1B1B13
	v_mul_f32_e32 v142, v19, v142                              // 00000001CEF4: 0B1D1D13
	v_mul_f32_e32 v143, v19, v143                              // 00000001CEF8: 0B1F1F13
	v_mul_f32_dpp v128, v248, v128 quad_perm:[0,0,0,0] row_mask:0xf bank_mask:0xf// 00000001CEFC: 0B0100FA FF0000F8
	v_mul_f32_dpp v129, v248, v129 quad_perm:[1,1,1,1] row_mask:0xf bank_mask:0xf// 00000001CF04: 0B0302FA FF0055F8
	v_mul_f32_dpp v130, v248, v130 quad_perm:[2,2,2,2] row_mask:0xf bank_mask:0xf// 00000001CF0C: 0B0504FA FF00AAF8
	v_mul_f32_dpp v131, v248, v131 quad_perm:[3,3,3,3] row_mask:0xf bank_mask:0xf// 00000001CF14: 0B0706FA FF00FFF8
	v_mul_f32_dpp v132, v249, v132 quad_perm:[0,0,0,0] row_mask:0xf bank_mask:0xf// 00000001CF1C: 0B0908FA FF0000F9
	v_mul_f32_dpp v133, v249, v133 quad_perm:[1,1,1,1] row_mask:0xf bank_mask:0xf// 00000001CF24: 0B0B0AFA FF0055F9
	v_mul_f32_dpp v134, v249, v134 quad_perm:[2,2,2,2] row_mask:0xf bank_mask:0xf// 00000001CF2C: 0B0D0CFA FF00AAF9
	v_mul_f32_dpp v135, v249, v135 quad_perm:[3,3,3,3] row_mask:0xf bank_mask:0xf// 00000001CF34: 0B0F0EFA FF00FFF9
	v_mul_f32_dpp v136, v250, v136 quad_perm:[0,0,0,0] row_mask:0xf bank_mask:0xf// 00000001CF3C: 0B1110FA FF0000FA
	v_mul_f32_dpp v137, v250, v137 quad_perm:[1,1,1,1] row_mask:0xf bank_mask:0xf// 00000001CF44: 0B1312FA FF0055FA
	v_mul_f32_dpp v138, v250, v138 quad_perm:[2,2,2,2] row_mask:0xf bank_mask:0xf// 00000001CF4C: 0B1514FA FF00AAFA
	v_mul_f32_dpp v139, v250, v139 quad_perm:[3,3,3,3] row_mask:0xf bank_mask:0xf// 00000001CF54: 0B1716FA FF00FFFA
	v_mul_f32_dpp v140, v251, v140 quad_perm:[0,0,0,0] row_mask:0xf bank_mask:0xf// 00000001CF5C: 0B1918FA FF0000FB
	v_mul_f32_dpp v141, v251, v141 quad_perm:[1,1,1,1] row_mask:0xf bank_mask:0xf// 00000001CF64: 0B1B1AFA FF0055FB
	v_mul_f32_dpp v142, v251, v142 quad_perm:[2,2,2,2] row_mask:0xf bank_mask:0xf// 00000001CF6C: 0B1D1CFA FF00AAFB
	v_mul_f32_dpp v143, v251, v143 quad_perm:[3,3,3,3] row_mask:0xf bank_mask:0xf// 00000001CF74: 0B1F1EFA FF00FFFB
	s_cmp_le_i32 s90, s89                                      // 00000001CF7C: BF05595A
	s_cbranch_scc1 label_6BD2                                  // 00000001CF80: BF850071
	v_mov_b32_e32 v66, 0xff800000                              // 00000001CF84: 7E8402FF FF800000
	s_mov_b32 s60, s90                                         // 00000001CF8C: BEBC005A
	s_add_u32 s61, s89, 0xff                                   // 00000001CF90: 803DFF59 000000FF
	v_mov_b32_e32 v64, s61                                     // 00000001CF98: 7E80023D
	v_lshrrev_b32_e32 v240, 4, v0                              // 00000001CF9C: 21E00084
	v_mul_i32_i24_e32 v240, 4, v240                            // 00000001CFA0: 0DE1E084
	v_add_u32_e32 v240, s60, v240                              // 00000001CFA4: 69E1E03C
	s_mov_b32 s61, 1                                           // 00000001CFA8: BEBD0081
	s_mul_i32 s60, 16, s7                                      // 00000001CFAC: 923C0790
	v_sub_u32_e64 v240, v240, s61                              // 00000001CFB0: D13500F0 00007BF0
	v_add_u32_e32 v240, s60, v240                              // 00000001CFB8: 69E1E03C
	v_add_u32_e32 v241, 1, v240                                // 00000001CFBC: 69E3E081
	v_add_u32_e32 v242, 2, v240                                // 00000001CFC0: 69E5E082
	v_add_u32_e32 v243, 3, v240                                // 00000001CFC4: 69E7E083
	v_cmp_le_u32_e64 s[40:41], v240, v64                       // 00000001CFC8: D0CB0028 000281F0
	v_add_u32_e32 v240, 64, v240                               // 00000001CFD0: 69E1E0C0
	s_nop 0                                                    // 00000001CFD4: BF800000
	v_cndmask_b32_e64 v128, v66, v128, s[40:41]                // 00000001CFD8: D1000080 00A30142
	v_cmp_le_u32_e64 s[40:41], v241, v64                       // 00000001CFE0: D0CB0028 000281F1
	v_add_u32_e32 v241, 64, v241                               // 00000001CFE8: 69E3E2C0
	s_nop 0                                                    // 00000001CFEC: BF800000
	v_cndmask_b32_e64 v129, v66, v129, s[40:41]                // 00000001CFF0: D1000081 00A30342
	v_cmp_le_u32_e64 s[40:41], v242, v64                       // 00000001CFF8: D0CB0028 000281F2
	v_add_u32_e32 v242, 64, v242                               // 00000001D000: 69E5E4C0
	s_nop 0                                                    // 00000001D004: BF800000
	v_cndmask_b32_e64 v130, v66, v130, s[40:41]                // 00000001D008: D1000082 00A30542
	v_cmp_le_u32_e64 s[40:41], v243, v64                       // 00000001D010: D0CB0028 000281F3
	v_add_u32_e32 v243, 64, v243                               // 00000001D018: 69E7E6C0
	s_nop 0                                                    // 00000001D01C: BF800000
	v_cndmask_b32_e64 v131, v66, v131, s[40:41]                // 00000001D020: D1000083 00A30742
	v_cmp_le_u32_e64 s[40:41], v240, v64                       // 00000001D028: D0CB0028 000281F0
	v_add_u32_e32 v240, 64, v240                               // 00000001D030: 69E1E0C0
	s_nop 0                                                    // 00000001D034: BF800000
	v_cndmask_b32_e64 v132, v66, v132, s[40:41]                // 00000001D038: D1000084 00A30942
	v_cmp_le_u32_e64 s[40:41], v241, v64                       // 00000001D040: D0CB0028 000281F1
	v_add_u32_e32 v241, 64, v241                               // 00000001D048: 69E3E2C0
	s_nop 0                                                    // 00000001D04C: BF800000
	v_cndmask_b32_e64 v133, v66, v133, s[40:41]                // 00000001D050: D1000085 00A30B42
	v_cmp_le_u32_e64 s[40:41], v242, v64                       // 00000001D058: D0CB0028 000281F2
	v_add_u32_e32 v242, 64, v242                               // 00000001D060: 69E5E4C0
	s_nop 0                                                    // 00000001D064: BF800000
	v_cndmask_b32_e64 v134, v66, v134, s[40:41]                // 00000001D068: D1000086 00A30D42
	v_cmp_le_u32_e64 s[40:41], v243, v64                       // 00000001D070: D0CB0028 000281F3
	v_add_u32_e32 v243, 64, v243                               // 00000001D078: 69E7E6C0
	s_nop 0                                                    // 00000001D07C: BF800000
	v_cndmask_b32_e64 v135, v66, v135, s[40:41]                // 00000001D080: D1000087 00A30F42
	v_cmp_le_u32_e64 s[40:41], v240, v64                       // 00000001D088: D0CB0028 000281F0
	v_add_u32_e32 v240, 64, v240                               // 00000001D090: 69E1E0C0
	s_nop 0                                                    // 00000001D094: BF800000
	v_cndmask_b32_e64 v136, v66, v136, s[40:41]                // 00000001D098: D1000088 00A31142
	v_cmp_le_u32_e64 s[40:41], v241, v64                       // 00000001D0A0: D0CB0028 000281F1
	v_add_u32_e32 v241, 64, v241                               // 00000001D0A8: 69E3E2C0
	s_nop 0                                                    // 00000001D0AC: BF800000
	v_cndmask_b32_e64 v137, v66, v137, s[40:41]                // 00000001D0B0: D1000089 00A31342
	v_cmp_le_u32_e64 s[40:41], v242, v64                       // 00000001D0B8: D0CB0028 000281F2
	v_add_u32_e32 v242, 64, v242                               // 00000001D0C0: 69E5E4C0
	s_nop 0                                                    // 00000001D0C4: BF800000
	v_cndmask_b32_e64 v138, v66, v138, s[40:41]                // 00000001D0C8: D100008A 00A31542
	v_cmp_le_u32_e64 s[40:41], v243, v64                       // 00000001D0D0: D0CB0028 000281F3
	v_add_u32_e32 v243, 64, v243                               // 00000001D0D8: 69E7E6C0
	s_nop 0                                                    // 00000001D0DC: BF800000
	v_cndmask_b32_e64 v139, v66, v139, s[40:41]                // 00000001D0E0: D100008B 00A31742
	v_cmp_le_u32_e64 s[40:41], v240, v64                       // 00000001D0E8: D0CB0028 000281F0
	v_add_u32_e32 v240, 64, v240                               // 00000001D0F0: 69E1E0C0
	s_nop 0                                                    // 00000001D0F4: BF800000
	v_cndmask_b32_e64 v140, v66, v140, s[40:41]                // 00000001D0F8: D100008C 00A31942
	v_cmp_le_u32_e64 s[40:41], v241, v64                       // 00000001D100: D0CB0028 000281F1
	v_add_u32_e32 v241, 64, v241                               // 00000001D108: 69E3E2C0
	s_nop 0                                                    // 00000001D10C: BF800000
	v_cndmask_b32_e64 v141, v66, v141, s[40:41]                // 00000001D110: D100008D 00A31B42
	v_cmp_le_u32_e64 s[40:41], v242, v64                       // 00000001D118: D0CB0028 000281F2
	v_add_u32_e32 v242, 64, v242                               // 00000001D120: 69E5E4C0
	s_nop 0                                                    // 00000001D124: BF800000
	v_cndmask_b32_e64 v142, v66, v142, s[40:41]                // 00000001D128: D100008E 00A31D42
	v_cmp_le_u32_e64 s[40:41], v243, v64                       // 00000001D130: D0CB0028 000281F3
	v_add_u32_e32 v243, 64, v243                               // 00000001D138: 69E7E6C0
	s_nop 0                                                    // 00000001D13C: BF800000
	v_cndmask_b32_e64 v143, v66, v143, s[40:41]                // 00000001D140: D100008F 00A31F42

000000000001d148 <label_6BD2>:
	s_and_b32 s60, s72, 0xff                                   // 00000001D148: 863CFF48 000000FF
	v_mov_b32_e32 v65, s60                                     // 00000001D150: 7E82023C
	v_lshrrev_b32_e32 v240, 4, v0                              // 00000001D154: 21E00084
	v_mul_i32_i24_e32 v240, 4, v240                            // 00000001D158: 0DE1E084
	s_mul_i32 s60, s7, 16                                      // 00000001D15C: 923C9007
	v_add_u32_e32 v240, s60, v240                              // 00000001D160: 69E1E03C
	v_add_u32_e32 v241, 1, v240                                // 00000001D164: 69E3E081
	v_add_u32_e32 v242, 2, v240                                // 00000001D168: 69E5E082
	v_add_u32_e32 v243, 3, v240                                // 00000001D16C: 69E7E083
	v_mov_b32_e32 v64, 0xff800000                              // 00000001D170: 7E8002FF FF800000
	v_cmp_lt_u32_e64 s[40:41], v240, v65                       // 00000001D178: D0C90028 000283F0
	v_add_u32_e32 v240, 64, v240                               // 00000001D180: 69E1E0C0
	s_nop 0                                                    // 00000001D184: BF800000
	v_cndmask_b32_e64 v128, v64, v128, s[40:41]                // 00000001D188: D1000080 00A30140
	v_cmp_lt_u32_e64 s[40:41], v241, v65                       // 00000001D190: D0C90028 000283F1
	v_add_u32_e32 v241, 64, v241                               // 00000001D198: 69E3E2C0
	s_nop 0                                                    // 00000001D19C: BF800000
	v_cndmask_b32_e64 v129, v64, v129, s[40:41]                // 00000001D1A0: D1000081 00A30340
	v_cmp_lt_u32_e64 s[40:41], v242, v65                       // 00000001D1A8: D0C90028 000283F2
	v_add_u32_e32 v242, 64, v242                               // 00000001D1B0: 69E5E4C0
	s_nop 0                                                    // 00000001D1B4: BF800000
	v_cndmask_b32_e64 v130, v64, v130, s[40:41]                // 00000001D1B8: D1000082 00A30540
	v_cmp_lt_u32_e64 s[40:41], v243, v65                       // 00000001D1C0: D0C90028 000283F3
	v_add_u32_e32 v243, 64, v243                               // 00000001D1C8: 69E7E6C0
	s_nop 0                                                    // 00000001D1CC: BF800000
	v_cndmask_b32_e64 v131, v64, v131, s[40:41]                // 00000001D1D0: D1000083 00A30740
	v_cmp_lt_u32_e64 s[40:41], v240, v65                       // 00000001D1D8: D0C90028 000283F0
	v_add_u32_e32 v240, 64, v240                               // 00000001D1E0: 69E1E0C0
	s_nop 0                                                    // 00000001D1E4: BF800000
	v_cndmask_b32_e64 v132, v64, v132, s[40:41]                // 00000001D1E8: D1000084 00A30940
	v_cmp_lt_u32_e64 s[40:41], v241, v65                       // 00000001D1F0: D0C90028 000283F1
	v_add_u32_e32 v241, 64, v241                               // 00000001D1F8: 69E3E2C0
	s_nop 0                                                    // 00000001D1FC: BF800000
	v_cndmask_b32_e64 v133, v64, v133, s[40:41]                // 00000001D200: D1000085 00A30B40
	v_cmp_lt_u32_e64 s[40:41], v242, v65                       // 00000001D208: D0C90028 000283F2
	v_add_u32_e32 v242, 64, v242                               // 00000001D210: 69E5E4C0
	s_nop 0                                                    // 00000001D214: BF800000
	v_cndmask_b32_e64 v134, v64, v134, s[40:41]                // 00000001D218: D1000086 00A30D40
	v_cmp_lt_u32_e64 s[40:41], v243, v65                       // 00000001D220: D0C90028 000283F3
	v_add_u32_e32 v243, 64, v243                               // 00000001D228: 69E7E6C0
	s_nop 0                                                    // 00000001D22C: BF800000
	v_cndmask_b32_e64 v135, v64, v135, s[40:41]                // 00000001D230: D1000087 00A30F40
	v_cmp_lt_u32_e64 s[40:41], v240, v65                       // 00000001D238: D0C90028 000283F0
	v_add_u32_e32 v240, 64, v240                               // 00000001D240: 69E1E0C0
	s_nop 0                                                    // 00000001D244: BF800000
	v_cndmask_b32_e64 v136, v64, v136, s[40:41]                // 00000001D248: D1000088 00A31140
	v_cmp_lt_u32_e64 s[40:41], v241, v65                       // 00000001D250: D0C90028 000283F1
	v_add_u32_e32 v241, 64, v241                               // 00000001D258: 69E3E2C0
	s_nop 0                                                    // 00000001D25C: BF800000
	v_cndmask_b32_e64 v137, v64, v137, s[40:41]                // 00000001D260: D1000089 00A31340
	v_cmp_lt_u32_e64 s[40:41], v242, v65                       // 00000001D268: D0C90028 000283F2
	v_add_u32_e32 v242, 64, v242                               // 00000001D270: 69E5E4C0
	s_nop 0                                                    // 00000001D274: BF800000
	v_cndmask_b32_e64 v138, v64, v138, s[40:41]                // 00000001D278: D100008A 00A31540
	v_cmp_lt_u32_e64 s[40:41], v243, v65                       // 00000001D280: D0C90028 000283F3
	v_add_u32_e32 v243, 64, v243                               // 00000001D288: 69E7E6C0
	s_nop 0                                                    // 00000001D28C: BF800000
	v_cndmask_b32_e64 v139, v64, v139, s[40:41]                // 00000001D290: D100008B 00A31740
	v_cmp_lt_u32_e64 s[40:41], v240, v65                       // 00000001D298: D0C90028 000283F0
	v_add_u32_e32 v240, 64, v240                               // 00000001D2A0: 69E1E0C0
	s_nop 0                                                    // 00000001D2A4: BF800000
	v_cndmask_b32_e64 v140, v64, v140, s[40:41]                // 00000001D2A8: D100008C 00A31940
	v_cmp_lt_u32_e64 s[40:41], v241, v65                       // 00000001D2B0: D0C90028 000283F1
	v_add_u32_e32 v241, 64, v241                               // 00000001D2B8: 69E3E2C0
	s_nop 0                                                    // 00000001D2BC: BF800000
	v_cndmask_b32_e64 v141, v64, v141, s[40:41]                // 00000001D2C0: D100008D 00A31B40
	v_cmp_lt_u32_e64 s[40:41], v242, v65                       // 00000001D2C8: D0C90028 000283F2
	v_add_u32_e32 v242, 64, v242                               // 00000001D2D0: 69E5E4C0
	s_nop 0                                                    // 00000001D2D4: BF800000
	v_cndmask_b32_e64 v142, v64, v142, s[40:41]                // 00000001D2D8: D100008E 00A31D40
	v_cmp_lt_u32_e64 s[40:41], v243, v65                       // 00000001D2E0: D0C90028 000283F3
	v_add_u32_e32 v243, 64, v243                               // 00000001D2E8: 69E7E6C0
	s_nop 0                                                    // 00000001D2EC: BF800000
	v_cndmask_b32_e64 v143, v64, v143, s[40:41]                // 00000001D2F0: D100008F 00A31F40
	v_mov_b32_e32 v48, v128                                    // 00000001D2F8: 7E600380
	v_max3_f32 v48, v128, v129, v48                            // 00000001D2FC: D1D30030 04C30380
	v_max3_f32 v48, v130, v131, v48                            // 00000001D304: D1D30030 04C30782
	v_max3_f32 v48, v132, v133, v48                            // 00000001D30C: D1D30030 04C30B84
	v_max3_f32 v48, v134, v135, v48                            // 00000001D314: D1D30030 04C30F86
	v_max3_f32 v48, v136, v137, v48                            // 00000001D31C: D1D30030 04C31388
	v_max3_f32 v48, v138, v139, v48                            // 00000001D324: D1D30030 04C3178A
	v_max3_f32 v48, v140, v141, v48                            // 00000001D32C: D1D30030 04C31B8C
	v_max3_f32 v48, v142, v143, v48                            // 00000001D334: D1D30030 04C31F8E
	ds_write_b32 v8, v48 offset:16896                          // 00000001D33C: D81A4200 00003008
	v_mul_f32_e32 v216, v50, v216                              // 00000001D344: 0BB1B132
	v_mul_f32_e32 v217, v50, v217                              // 00000001D348: 0BB3B332
	v_mul_f32_e32 v218, v50, v218                              // 00000001D34C: 0BB5B532
	v_mul_f32_e32 v219, v50, v219                              // 00000001D350: 0BB7B732
	v_mul_f32_e32 v220, v50, v220                              // 00000001D354: 0BB9B932
	v_mul_f32_e32 v221, v50, v221                              // 00000001D358: 0BBBBB32
	v_mul_f32_e32 v222, v50, v222                              // 00000001D35C: 0BBDBD32
	v_mul_f32_e32 v223, v50, v223                              // 00000001D360: 0BBFBF32
	s_waitcnt lgkmcnt(0)                                       // 00000001D364: BF8CC07F
	s_barrier                                                  // 00000001D368: BF8A0000
	ds_read_b32 v64, v7 offset:16896                           // 00000001D36C: D86C4200 40000007
	ds_read_b32 v65, v7 offset:16960                           // 00000001D374: D86C4240 41000007
	ds_read_b32 v66, v7 offset:17024                           // 00000001D37C: D86C4280 42000007
	ds_read_b32 v67, v7 offset:17088                           // 00000001D384: D86C42C0 43000007
	ds_read_b32 v68, v7 offset:17152                           // 00000001D38C: D86C4300 44000007
	ds_read_b32 v69, v7 offset:17216                           // 00000001D394: D86C4340 45000007
	ds_read_b32 v70, v7 offset:17280                           // 00000001D39C: D86C4380 46000007
	ds_read_b32 v71, v7 offset:17344                           // 00000001D3A4: D86C43C0 47000007
	ds_read_b32 v72, v7 offset:17408                           // 00000001D3AC: D86C4400 48000007
	ds_read_b32 v73, v7 offset:17472                           // 00000001D3B4: D86C4440 49000007
	ds_read_b32 v74, v7 offset:17536                           // 00000001D3BC: D86C4480 4A000007
	ds_read_b32 v75, v7 offset:17600                           // 00000001D3C4: D86C44C0 4B000007
	ds_read_b32 v76, v7 offset:17664                           // 00000001D3CC: D86C4500 4C000007
	ds_read_b32 v77, v7 offset:17728                           // 00000001D3D4: D86C4540 4D000007
	ds_read_b32 v78, v7 offset:17792                           // 00000001D3DC: D86C4580 4E000007
	ds_read_b32 v79, v7 offset:17856                           // 00000001D3E4: D86C45C0 4F000007
	v_cvt_f32_i32_e32 v184, v184                               // 00000001D3EC: 7F700BB8
	v_cvt_f32_i32_e32 v185, v185                               // 00000001D3F0: 7F720BB9
	v_cvt_f32_i32_e32 v186, v186                               // 00000001D3F4: 7F740BBA
	v_cvt_f32_i32_e32 v187, v187                               // 00000001D3F8: 7F760BBB
	v_cvt_f32_i32_e32 v188, v188                               // 00000001D3FC: 7F780BBC
	v_cvt_f32_i32_e32 v189, v189                               // 00000001D400: 7F7A0BBD
	v_cvt_f32_i32_e32 v190, v190                               // 00000001D404: 7F7C0BBE
	v_cvt_f32_i32_e32 v191, v191                               // 00000001D408: 7F7E0BBF
	v_mul_f32_e32 v184, v45, v184                              // 00000001D40C: 0B71712D
	v_mul_f32_e32 v185, v45, v185                              // 00000001D410: 0B73732D
	v_mul_f32_e32 v186, v45, v186                              // 00000001D414: 0B75752D
	v_mul_f32_e32 v187, v45, v187                              // 00000001D418: 0B77772D
	v_mul_f32_e32 v188, v45, v188                              // 00000001D41C: 0B79792D
	v_mul_f32_e32 v189, v45, v189                              // 00000001D420: 0B7B7B2D
	v_mul_f32_e32 v190, v45, v190                              // 00000001D424: 0B7D7D2D
	v_mul_f32_e32 v191, v45, v191                              // 00000001D428: 0B7F7F2D
	s_waitcnt lgkmcnt(0)                                       // 00000001D42C: BF8CC07F
	v_max3_f32 v48, v64, v65, v48                              // 00000001D430: D1D30030 04C28340
	v_max3_f32 v48, v66, v67, v48                              // 00000001D438: D1D30030 04C28742
	v_max3_f32 v48, v68, v69, v48                              // 00000001D440: D1D30030 04C28B44
	v_max3_f32 v48, v70, v71, v48                              // 00000001D448: D1D30030 04C28F46
	v_max3_f32 v48, v72, v73, v48                              // 00000001D450: D1D30030 04C29348
	v_max3_f32 v48, v74, v75, v48                              // 00000001D458: D1D30030 04C2974A
	v_max3_f32 v48, v76, v77, v48                              // 00000001D460: D1D30030 04C29B4C
	v_max3_f32 v48, v78, v79, v48                              // 00000001D468: D1D30030 04C29F4E
	v_mov_b32_e32 v64, 0xff800000                              // 00000001D470: 7E8002FF FF800000
	v_cmp_eq_u32_e64 s[40:41], v64, v12                        // 00000001D478: D0CA0028 00021940
	s_nop 1                                                    // 00000001D480: BF800001
	v_max_f32_e32 v15, v48, v12                                // 00000001D484: 161E1930
	v_mul_f32_e32 v53, s64, v15                                // 00000001D488: 0A6A1E40
	v_fma_f32 v128, v128, s64, -v53                            // 00000001D48C: D1CB0080 84D48180
	v_fma_f32 v129, v129, s64, -v53                            // 00000001D494: D1CB0081 84D48181
	v_fma_f32 v130, v130, s64, -v53                            // 00000001D49C: D1CB0082 84D48182
	v_fma_f32 v131, v131, s64, -v53                            // 00000001D4A4: D1CB0083 84D48183
	v_fma_f32 v132, v132, s64, -v53                            // 00000001D4AC: D1CB0084 84D48184
	v_fma_f32 v133, v133, s64, -v53                            // 00000001D4B4: D1CB0085 84D48185
	v_fma_f32 v134, v134, s64, -v53                            // 00000001D4BC: D1CB0086 84D48186
	v_fma_f32 v135, v135, s64, -v53                            // 00000001D4C4: D1CB0087 84D48187
	v_fma_f32 v136, v136, s64, -v53                            // 00000001D4CC: D1CB0088 84D48188
	v_fma_f32 v137, v137, s64, -v53                            // 00000001D4D4: D1CB0089 84D48189
	v_fma_f32 v138, v138, s64, -v53                            // 00000001D4DC: D1CB008A 84D4818A
	v_fma_f32 v139, v139, s64, -v53                            // 00000001D4E4: D1CB008B 84D4818B
	v_fma_f32 v140, v140, s64, -v53                            // 00000001D4EC: D1CB008C 84D4818C
	v_fma_f32 v141, v141, s64, -v53                            // 00000001D4F4: D1CB008D 84D4818D
	v_fma_f32 v142, v142, s64, -v53                            // 00000001D4FC: D1CB008E 84D4818E
	v_fma_f32 v143, v143, s64, -v53                            // 00000001D504: D1CB008F 84D4818F
	v_exp_f32_e32 v128, v128                                   // 00000001D50C: 7F004180
	v_exp_f32_e32 v129, v129                                   // 00000001D510: 7F024181
	v_exp_f32_e32 v130, v130                                   // 00000001D514: 7F044182
	v_exp_f32_e32 v131, v131                                   // 00000001D518: 7F064183
	v_exp_f32_e32 v132, v132                                   // 00000001D51C: 7F084184
	v_exp_f32_e32 v133, v133                                   // 00000001D520: 7F0A4185
	v_exp_f32_e32 v134, v134                                   // 00000001D524: 7F0C4186
	v_exp_f32_e32 v135, v135                                   // 00000001D528: 7F0E4187
	v_exp_f32_e32 v136, v136                                   // 00000001D52C: 7F104188
	v_exp_f32_e32 v137, v137                                   // 00000001D530: 7F124189
	v_exp_f32_e32 v138, v138                                   // 00000001D534: 7F14418A
	v_exp_f32_e32 v139, v139                                   // 00000001D538: 7F16418B
	v_exp_f32_e32 v140, v140                                   // 00000001D53C: 7F18418C
	v_exp_f32_e32 v141, v141                                   // 00000001D540: 7F1A418D
	v_exp_f32_e32 v142, v142                                   // 00000001D544: 7F1C418E
	v_exp_f32_e32 v143, v143                                   // 00000001D548: 7F1E418F
	v_mul_f32_dpp v240, v252, v128 quad_perm:[0,0,0,0] row_mask:0xf bank_mask:0xf// 00000001D54C: 0BE100FA FF0000FC
	v_mul_f32_dpp v241, v252, v129 quad_perm:[1,1,1,1] row_mask:0xf bank_mask:0xf// 00000001D554: 0BE302FA FF0055FC
	v_mul_f32_dpp v242, v252, v130 quad_perm:[2,2,2,2] row_mask:0xf bank_mask:0xf// 00000001D55C: 0BE504FA FF00AAFC
	v_mul_f32_dpp v243, v252, v131 quad_perm:[3,3,3,3] row_mask:0xf bank_mask:0xf// 00000001D564: 0BE706FA FF00FFFC
	v_mul_f32_dpp v244, v253, v132 quad_perm:[0,0,0,0] row_mask:0xf bank_mask:0xf// 00000001D56C: 0BE908FA FF0000FD
	v_mul_f32_dpp v245, v253, v133 quad_perm:[1,1,1,1] row_mask:0xf bank_mask:0xf// 00000001D574: 0BEB0AFA FF0055FD
	v_mul_f32_dpp v246, v253, v134 quad_perm:[2,2,2,2] row_mask:0xf bank_mask:0xf// 00000001D57C: 0BED0CFA FF00AAFD
	v_mul_f32_dpp v247, v253, v135 quad_perm:[3,3,3,3] row_mask:0xf bank_mask:0xf// 00000001D584: 0BEF0EFA FF00FFFD
	v_mul_f32_dpp v248, v254, v136 quad_perm:[0,0,0,0] row_mask:0xf bank_mask:0xf// 00000001D58C: 0BF110FA FF0000FE
	v_mul_f32_dpp v249, v254, v137 quad_perm:[1,1,1,1] row_mask:0xf bank_mask:0xf// 00000001D594: 0BF312FA FF0055FE
	v_mul_f32_dpp v250, v254, v138 quad_perm:[2,2,2,2] row_mask:0xf bank_mask:0xf// 00000001D59C: 0BF514FA FF00AAFE
	v_mul_f32_dpp v251, v254, v139 quad_perm:[3,3,3,3] row_mask:0xf bank_mask:0xf// 00000001D5A4: 0BF716FA FF00FFFE
	v_mul_f32_dpp v252, v255, v140 quad_perm:[0,0,0,0] row_mask:0xf bank_mask:0xf// 00000001D5AC: 0BF918FA FF0000FF
	v_mul_f32_dpp v253, v255, v141 quad_perm:[1,1,1,1] row_mask:0xf bank_mask:0xf// 00000001D5B4: 0BFB1AFA FF0055FF
	v_mul_f32_dpp v254, v255, v142 quad_perm:[2,2,2,2] row_mask:0xf bank_mask:0xf// 00000001D5BC: 0BFD1CFA FF00AAFF
	v_mul_f32_dpp v255, v255, v143 quad_perm:[3,3,3,3] row_mask:0xf bank_mask:0xf// 00000001D5C4: 0BFF1EFA FF00FFFF
	v_mov_b32_e32 v48, 0x358637bd                              // 00000001D5CC: 7E6002FF 358637BD
	v_max3_f32 v48, |v240|, |v241|, v48                        // 00000001D5D4: D1D30330 04C3E3F0
	v_max3_f32 v48, |v242|, |v243|, v48                        // 00000001D5DC: D1D30330 04C3E7F2
	v_max3_f32 v48, |v244|, |v245|, v48                        // 00000001D5E4: D1D30330 04C3EBF4
	v_max3_f32 v48, |v246|, |v247|, v48                        // 00000001D5EC: D1D30330 04C3EFF6
	v_max3_f32 v48, |v248|, |v249|, v48                        // 00000001D5F4: D1D30330 04C3F3F8
	v_max3_f32 v48, |v250|, |v251|, v48                        // 00000001D5FC: D1D30330 04C3F7FA
	v_max3_f32 v48, |v252|, |v253|, v48                        // 00000001D604: D1D30330 04C3FBFC
	v_max3_f32 v48, |v254|, |v255|, v48                        // 00000001D60C: D1D30330 04C3FFFE
	ds_write_b32 v8, v48 offset:20992                          // 00000001D614: D81A5200 00003008
	v_sub_f32_e32 v50, v12, v15                                // 00000001D61C: 04641F0C
	v_cndmask_b32_e64 v50, v50, 0, s[40:41]                    // 00000001D620: D1000032 00A10132
	v_mov_b32_e32 v12, v15                                     // 00000001D628: 7E18030F
	v_mul_f32_e32 v50, s64, v50                                // 00000001D62C: 0A646440
	v_exp_f32_e32 v50, v50                                     // 00000001D630: 7E644132
	s_waitcnt lgkmcnt(0)                                       // 00000001D634: BF8CC07F
	s_barrier                                                  // 00000001D638: BF8A0000
	ds_read_b32 v64, v7 offset:20992                           // 00000001D63C: D86C5200 40000007
	ds_read_b32 v65, v7 offset:21056                           // 00000001D644: D86C5240 41000007
	ds_read_b32 v66, v7 offset:21120                           // 00000001D64C: D86C5280 42000007
	ds_read_b32 v67, v7 offset:21184                           // 00000001D654: D86C52C0 43000007
	ds_read_b32 v68, v7 offset:21248                           // 00000001D65C: D86C5300 44000007
	ds_read_b32 v69, v7 offset:21312                           // 00000001D664: D86C5340 45000007
	ds_read_b32 v70, v7 offset:21376                           // 00000001D66C: D86C5380 46000007
	ds_read_b32 v71, v7 offset:21440                           // 00000001D674: D86C53C0 47000007
	ds_read_b32 v72, v7 offset:21504                           // 00000001D67C: D86C5400 48000007
	ds_read_b32 v73, v7 offset:21568                           // 00000001D684: D86C5440 49000007
	ds_read_b32 v74, v7 offset:21632                           // 00000001D68C: D86C5480 4A000007
	ds_read_b32 v75, v7 offset:21696                           // 00000001D694: D86C54C0 4B000007
	ds_read_b32 v76, v7 offset:21760                           // 00000001D69C: D86C5500 4C000007
	ds_read_b32 v77, v7 offset:21824                           // 00000001D6A4: D86C5540 4D000007
	ds_read_b32 v78, v7 offset:21888                           // 00000001D6AC: D86C5580 4E000007
	ds_read_b32 v79, v7 offset:21952                           // 00000001D6B4: D86C55C0 4F000007
	v_mul_f32_e32 v39, v50, v39                                // 00000001D6BC: 0A4E4F32
	v_mov_b32_e32 v15, v128                                    // 00000001D6C0: 7E1E0380
	v_add_f32_e32 v15, v129, v15                               // 00000001D6C4: 021E1F81
	v_add_f32_e32 v15, v130, v15                               // 00000001D6C8: 021E1F82
	v_add_f32_e32 v15, v131, v15                               // 00000001D6CC: 021E1F83
	v_add_f32_e32 v15, v132, v15                               // 00000001D6D0: 021E1F84
	v_add_f32_e32 v15, v133, v15                               // 00000001D6D4: 021E1F85
	v_add_f32_e32 v15, v134, v15                               // 00000001D6D8: 021E1F86
	v_add_f32_e32 v15, v135, v15                               // 00000001D6DC: 021E1F87
	v_add_f32_e32 v15, v136, v15                               // 00000001D6E0: 021E1F88
	v_add_f32_e32 v15, v137, v15                               // 00000001D6E4: 021E1F89
	v_add_f32_e32 v15, v138, v15                               // 00000001D6E8: 021E1F8A
	v_add_f32_e32 v15, v139, v15                               // 00000001D6EC: 021E1F8B
	v_add_f32_e32 v15, v140, v15                               // 00000001D6F0: 021E1F8C
	v_add_f32_e32 v15, v141, v15                               // 00000001D6F4: 021E1F8D
	v_add_f32_e32 v15, v142, v15                               // 00000001D6F8: 021E1F8E
	v_add_f32_e32 v15, v143, v15                               // 00000001D6FC: 021E1F8F
	v_add_f32_e32 v39, v15, v39                                // 00000001D700: 024E4F0F
	s_waitcnt lgkmcnt(0)                                       // 00000001D704: BF8CC07F
	v_max3_f32 v48, |v64|, |v65|, v48                          // 00000001D708: D1D30330 04C28340
	v_max3_f32 v48, |v66|, |v67|, v48                          // 00000001D710: D1D30330 04C28742
	v_max3_f32 v48, |v68|, |v69|, v48                          // 00000001D718: D1D30330 04C28B44
	v_max3_f32 v48, |v70|, |v71|, v48                          // 00000001D720: D1D30330 04C28F46
	v_max3_f32 v48, |v72|, |v73|, v48                          // 00000001D728: D1D30330 04C29348
	v_max3_f32 v48, |v74|, |v75|, v48                          // 00000001D730: D1D30330 04C2974A
	v_max3_f32 v48, |v76|, |v77|, v48                          // 00000001D738: D1D30330 04C29B4C
	v_max3_f32 v48, |v78|, |v79|, v48                          // 00000001D740: D1D30330 04C29F4E
	s_nop 2                                                    // 00000001D748: BF800002
	v_rcp_f32_e32 v48, v48                                     // 00000001D74C: 7E604530
	s_nop 1                                                    // 00000001D750: BF800001
	v_mul_f32_e32 v48, 0x42fe0000, v48                         // 00000001D754: 0A6060FF 42FE0000
	v_mul_f32_e32 v128, v48, v240                              // 00000001D75C: 0B01E130
	v_mul_f32_e32 v129, v48, v241                              // 00000001D760: 0B03E330
	v_mul_f32_e32 v130, v48, v242                              // 00000001D764: 0B05E530
	v_mul_f32_e32 v131, v48, v243                              // 00000001D768: 0B07E730
	v_mul_f32_e32 v132, v48, v244                              // 00000001D76C: 0B09E930
	v_mul_f32_e32 v133, v48, v245                              // 00000001D770: 0B0BEB30
	v_mul_f32_e32 v134, v48, v246                              // 00000001D774: 0B0DED30
	v_mul_f32_e32 v135, v48, v247                              // 00000001D778: 0B0FEF30
	v_mul_f32_e32 v136, v48, v248                              // 00000001D77C: 0B11F130
	v_mul_f32_e32 v137, v48, v249                              // 00000001D780: 0B13F330
	v_mul_f32_e32 v138, v48, v250                              // 00000001D784: 0B15F530
	v_mul_f32_e32 v139, v48, v251                              // 00000001D788: 0B17F730
	v_mul_f32_e32 v140, v48, v252                              // 00000001D78C: 0B19F930
	v_mul_f32_e32 v141, v48, v253                              // 00000001D790: 0B1BFB30
	v_mul_f32_e32 v142, v48, v254                              // 00000001D794: 0B1DFD30
	v_mul_f32_e32 v143, v48, v255                              // 00000001D798: 0B1FFF30
	v_cvt_i32_f32_e32 v128, v128                               // 00000001D79C: 7F001180
	v_cvt_i32_f32_e32 v129, v129                               // 00000001D7A0: 7F021181
	v_cvt_i32_f32_e32 v130, v130                               // 00000001D7A4: 7F041182
	v_cvt_i32_f32_e32 v131, v131                               // 00000001D7A8: 7F061183
	v_cvt_i32_f32_e32 v132, v132                               // 00000001D7AC: 7F081184
	v_cvt_i32_f32_e32 v133, v133                               // 00000001D7B0: 7F0A1185
	v_cvt_i32_f32_e32 v134, v134                               // 00000001D7B4: 7F0C1186
	v_cvt_i32_f32_e32 v135, v135                               // 00000001D7B8: 7F0E1187
	v_cvt_i32_f32_e32 v136, v136                               // 00000001D7BC: 7F101188
	v_cvt_i32_f32_e32 v137, v137                               // 00000001D7C0: 7F121189
	v_cvt_i32_f32_e32 v138, v138                               // 00000001D7C4: 7F14118A
	v_cvt_i32_f32_e32 v139, v139                               // 00000001D7C8: 7F16118B
	v_cvt_i32_f32_e32 v140, v140                               // 00000001D7CC: 7F18118C
	v_cvt_i32_f32_e32 v141, v141                               // 00000001D7D0: 7F1A118D
	v_cvt_i32_f32_e32 v142, v142                               // 00000001D7D4: 7F1C118E
	v_cvt_i32_f32_e32 v143, v143                               // 00000001D7D8: 7F1E118F
	v_perm_b32 v128, v129, v128, s53                           // 00000001D7DC: D1ED0080 00D70181
	v_perm_b32 v128, v130, v128, s54                           // 00000001D7E4: D1ED0080 00DB0182
	v_perm_b32 v128, v131, v128, s55                           // 00000001D7EC: D1ED0080 00DF0183
	v_perm_b32 v129, v133, v132, s53                           // 00000001D7F4: D1ED0081 00D70985
	v_perm_b32 v129, v134, v129, s54                           // 00000001D7FC: D1ED0081 00DB0386
	v_perm_b32 v129, v135, v129, s55                           // 00000001D804: D1ED0081 00DF0387
	v_perm_b32 v130, v137, v136, s53                           // 00000001D80C: D1ED0082 00D71189
	v_perm_b32 v130, v138, v130, s54                           // 00000001D814: D1ED0082 00DB058A
	v_perm_b32 v130, v139, v130, s55                           // 00000001D81C: D1ED0082 00DF058B
	v_perm_b32 v131, v141, v140, s53                           // 00000001D824: D1ED0083 00D7198D
	v_perm_b32 v131, v142, v131, s54                           // 00000001D82C: D1ED0083 00DB078E
	v_perm_b32 v131, v143, v131, s55                           // 00000001D834: D1ED0083 00DF078F
	ds_write_b32 v10, v128 offset:29184                        // 00000001D83C: D81A7200 0000800A
	ds_write_b32 v10, v129 offset:30208                        // 00000001D844: D81A7600 0000810A
	ds_write_b32 v10, v130 offset:31232                        // 00000001D84C: D81A7A00 0000820A
	ds_write_b32 v10, v131 offset:32256                        // 00000001D854: D81A7E00 0000830A
	v_add_f32_e32 v216, v216, v184                             // 00000001D85C: 03B171D8
	v_add_f32_e32 v217, v217, v185                             // 00000001D860: 03B373D9
	v_add_f32_e32 v218, v218, v186                             // 00000001D864: 03B575DA
	v_add_f32_e32 v219, v219, v187                             // 00000001D868: 03B777DB
	v_add_f32_e32 v220, v220, v188                             // 00000001D86C: 03B979DC
	v_add_f32_e32 v221, v221, v189                             // 00000001D870: 03BB7BDD
	v_add_f32_e32 v222, v222, v190                             // 00000001D874: 03BD7DDE
	v_add_f32_e32 v223, v223, v191                             // 00000001D878: 03BF7FDF
	v_rcp_f32_e32 v45, v48                                     // 00000001D87C: 7E5A4530
	s_waitcnt lgkmcnt(0)                                       // 00000001D880: BF8CC07F
	s_barrier                                                  // 00000001D884: BF8A0000
	ds_read_b64 v[128:129], v9 offset:29184                    // 00000001D888: D8EC7200 80000009
	ds_read_b64 v[130:131], v9 offset:29312                    // 00000001D890: D8EC7280 82000009
	ds_read_b64 v[132:133], v9 offset:30208                    // 00000001D898: D8EC7600 84000009
	ds_read_b64 v[134:135], v9 offset:30336                    // 00000001D8A0: D8EC7680 86000009
	ds_read_b64 v[136:137], v9 offset:31232                    // 00000001D8A8: D8EC7A00 88000009
	ds_read_b64 v[138:139], v9 offset:31360                    // 00000001D8B0: D8EC7A80 8A000009
	ds_read_b64 v[140:141], v9 offset:32256                    // 00000001D8B8: D8EC7E00 8C000009
	ds_read_b64 v[142:143], v9 offset:32384                    // 00000001D8C0: D8EC7E80 8E000009
	v_mov_b32_dpp v64, v43 row_shr:4 row_mask:0xf bank_mask:0xf// 00000001D8C8: 7E8002FA FF01142B
	v_mov_b32_dpp v65, v43 row_shl:4 row_mask:0xf bank_mask:0xf// 00000001D8D0: 7E8202FA FF01042B
	v_cndmask_b32_e64 v248, v43, v64, s[44:45]                 // 00000001D8D8: D10000F8 00B2812B
	v_cndmask_b32_e64 v249, v65, v43, s[44:45]                 // 00000001D8E0: D10000F9 00B25741
	v_mov_b32_dpp v64, v248 row_shr:8 row_mask:0xf bank_mask:0xf// 00000001D8E8: 7E8002FA FF0118F8
	v_mov_b32_dpp v65, v248 row_shl:8 row_mask:0xf bank_mask:0xf// 00000001D8F0: 7E8202FA FF0108F8
	v_mov_b32_dpp v66, v249 row_shr:8 row_mask:0xf bank_mask:0xf// 00000001D8F8: 7E8402FA FF0118F9
	v_mov_b32_dpp v67, v249 row_shl:8 row_mask:0xf bank_mask:0xf// 00000001D900: 7E8602FA FF0108F9
	v_mov_b32_e32 v68, v248                                    // 00000001D908: 7E8803F8
	v_mov_b32_e32 v69, v249                                    // 00000001D90C: 7E8A03F9
	v_cndmask_b32_e64 v248, v68, v64, s[42:43]                 // 00000001D910: D10000F8 00AA8144
	v_cndmask_b32_e64 v250, v68, v65, s[78:79]                 // 00000001D918: D10000FA 013A8344
	v_cndmask_b32_e64 v249, v69, v66, s[42:43]                 // 00000001D920: D10000F9 00AA8545
	v_cndmask_b32_e64 v251, v69, v67, s[78:79]                 // 00000001D928: D10000FB 013A8745
	v_mov_b32_dpp v64, v58 row_shr:4 row_mask:0xf bank_mask:0xf// 00000001D930: 7E8002FA FF01143A
	v_mov_b32_dpp v65, v58 row_shl:4 row_mask:0xf bank_mask:0xf// 00000001D938: 7E8202FA FF01043A
	v_cndmask_b32_e64 v252, v58, v64, s[44:45]                 // 00000001D940: D10000FC 00B2813A
	v_cndmask_b32_e64 v253, v65, v58, s[44:45]                 // 00000001D948: D10000FD 00B27541
	v_mov_b32_dpp v64, v252 row_shr:8 row_mask:0xf bank_mask:0xf// 00000001D950: 7E8002FA FF0118FC
	v_mov_b32_dpp v65, v252 row_shl:8 row_mask:0xf bank_mask:0xf// 00000001D958: 7E8202FA FF0108FC
	v_mov_b32_dpp v66, v253 row_shr:8 row_mask:0xf bank_mask:0xf// 00000001D960: 7E8402FA FF0118FD
	v_mov_b32_dpp v67, v253 row_shl:8 row_mask:0xf bank_mask:0xf// 00000001D968: 7E8602FA FF0108FD
	v_mov_b32_e32 v68, v252                                    // 00000001D970: 7E8803FC
	v_mov_b32_e32 v69, v253                                    // 00000001D974: 7E8A03FD
	v_cndmask_b32_e64 v252, v68, v64, s[42:43]                 // 00000001D978: D10000FC 00AA8144
	v_cndmask_b32_e64 v254, v68, v65, s[78:79]                 // 00000001D980: D10000FE 013A8344
	v_cndmask_b32_e64 v253, v69, v66, s[42:43]                 // 00000001D988: D10000FD 00AA8545
	v_cndmask_b32_e64 v255, v69, v67, s[78:79]                 // 00000001D990: D10000FF 013A8745
	v_cvt_f32_i32_e32 v144, v144                               // 00000001D998: 7F200B90
	v_cvt_f32_i32_e32 v145, v145                               // 00000001D99C: 7F220B91
	v_cvt_f32_i32_e32 v146, v146                               // 00000001D9A0: 7F240B92
	v_cvt_f32_i32_e32 v147, v147                               // 00000001D9A4: 7F260B93
	v_cvt_f32_i32_e32 v148, v148                               // 00000001D9A8: 7F280B94
	v_cvt_f32_i32_e32 v149, v149                               // 00000001D9AC: 7F2A0B95
	v_cvt_f32_i32_e32 v150, v150                               // 00000001D9B0: 7F2C0B96
	v_cvt_f32_i32_e32 v151, v151                               // 00000001D9B4: 7F2E0B97
	v_cvt_f32_i32_e32 v152, v152                               // 00000001D9B8: 7F300B98
	v_cvt_f32_i32_e32 v153, v153                               // 00000001D9BC: 7F320B99
	v_cvt_f32_i32_e32 v154, v154                               // 00000001D9C0: 7F340B9A
	v_cvt_f32_i32_e32 v155, v155                               // 00000001D9C4: 7F360B9B
	v_cvt_f32_i32_e32 v156, v156                               // 00000001D9C8: 7F380B9C
	v_cvt_f32_i32_e32 v157, v157                               // 00000001D9CC: 7F3A0B9D
	v_cvt_f32_i32_e32 v158, v158                               // 00000001D9D0: 7F3C0B9E
	v_cvt_f32_i32_e32 v159, v159                               // 00000001D9D4: 7F3E0B9F
	v_mul_f32_e32 v144, v20, v144                              // 00000001D9D8: 0B212114
	v_mul_f32_e32 v145, v20, v145                              // 00000001D9DC: 0B232314
	v_mul_f32_e32 v146, v20, v146                              // 00000001D9E0: 0B252514
	v_mul_f32_e32 v147, v20, v147                              // 00000001D9E4: 0B272714
	v_mul_f32_e32 v148, v20, v148                              // 00000001D9E8: 0B292914
	v_mul_f32_e32 v149, v20, v149                              // 00000001D9EC: 0B2B2B14
	v_mul_f32_e32 v150, v20, v150                              // 00000001D9F0: 0B2D2D14
	v_mul_f32_e32 v151, v20, v151                              // 00000001D9F4: 0B2F2F14
	v_mul_f32_e32 v152, v20, v152                              // 00000001D9F8: 0B313114
	v_mul_f32_e32 v153, v20, v153                              // 00000001D9FC: 0B333314
	v_mul_f32_e32 v154, v20, v154                              // 00000001DA00: 0B353514
	v_mul_f32_e32 v155, v20, v155                              // 00000001DA04: 0B373714
	v_mul_f32_e32 v156, v20, v156                              // 00000001DA08: 0B393914
	v_mul_f32_e32 v157, v20, v157                              // 00000001DA0C: 0B3B3B14
	v_mul_f32_e32 v158, v20, v158                              // 00000001DA10: 0B3D3D14
	v_mul_f32_e32 v159, v20, v159                              // 00000001DA14: 0B3F3F14
	v_mul_f32_dpp v144, v248, v144 quad_perm:[0,0,0,0] row_mask:0xf bank_mask:0xf// 00000001DA18: 0B2120FA FF0000F8
	v_mul_f32_dpp v145, v248, v145 quad_perm:[1,1,1,1] row_mask:0xf bank_mask:0xf// 00000001DA20: 0B2322FA FF0055F8
	v_mul_f32_dpp v146, v248, v146 quad_perm:[2,2,2,2] row_mask:0xf bank_mask:0xf// 00000001DA28: 0B2524FA FF00AAF8
	v_mul_f32_dpp v147, v248, v147 quad_perm:[3,3,3,3] row_mask:0xf bank_mask:0xf// 00000001DA30: 0B2726FA FF00FFF8
	v_mul_f32_dpp v148, v249, v148 quad_perm:[0,0,0,0] row_mask:0xf bank_mask:0xf// 00000001DA38: 0B2928FA FF0000F9
	v_mul_f32_dpp v149, v249, v149 quad_perm:[1,1,1,1] row_mask:0xf bank_mask:0xf// 00000001DA40: 0B2B2AFA FF0055F9
	v_mul_f32_dpp v150, v249, v150 quad_perm:[2,2,2,2] row_mask:0xf bank_mask:0xf// 00000001DA48: 0B2D2CFA FF00AAF9
	v_mul_f32_dpp v151, v249, v151 quad_perm:[3,3,3,3] row_mask:0xf bank_mask:0xf// 00000001DA50: 0B2F2EFA FF00FFF9
	v_mul_f32_dpp v152, v250, v152 quad_perm:[0,0,0,0] row_mask:0xf bank_mask:0xf// 00000001DA58: 0B3130FA FF0000FA
	v_mul_f32_dpp v153, v250, v153 quad_perm:[1,1,1,1] row_mask:0xf bank_mask:0xf// 00000001DA60: 0B3332FA FF0055FA
	v_mul_f32_dpp v154, v250, v154 quad_perm:[2,2,2,2] row_mask:0xf bank_mask:0xf// 00000001DA68: 0B3534FA FF00AAFA
	v_mul_f32_dpp v155, v250, v155 quad_perm:[3,3,3,3] row_mask:0xf bank_mask:0xf// 00000001DA70: 0B3736FA FF00FFFA
	v_mul_f32_dpp v156, v251, v156 quad_perm:[0,0,0,0] row_mask:0xf bank_mask:0xf// 00000001DA78: 0B3938FA FF0000FB
	v_mul_f32_dpp v157, v251, v157 quad_perm:[1,1,1,1] row_mask:0xf bank_mask:0xf// 00000001DA80: 0B3B3AFA FF0055FB
	v_mul_f32_dpp v158, v251, v158 quad_perm:[2,2,2,2] row_mask:0xf bank_mask:0xf// 00000001DA88: 0B3D3CFA FF00AAFB
	v_mul_f32_dpp v159, v251, v159 quad_perm:[3,3,3,3] row_mask:0xf bank_mask:0xf// 00000001DA90: 0B3F3EFA FF00FFFB
	s_cmp_le_i32 s90, s89                                      // 00000001DA98: BF05595A
	s_cbranch_scc1 label_6E99                                  // 00000001DA9C: BF850071
	v_mov_b32_e32 v66, 0xff800000                              // 00000001DAA0: 7E8402FF FF800000
	s_mov_b32 s60, s90                                         // 00000001DAA8: BEBC005A
	s_add_u32 s61, s89, 0xff                                   // 00000001DAAC: 803DFF59 000000FF
	v_mov_b32_e32 v64, s61                                     // 00000001DAB4: 7E80023D
	v_lshrrev_b32_e32 v240, 4, v0                              // 00000001DAB8: 21E00084
	v_mul_i32_i24_e32 v240, 4, v240                            // 00000001DABC: 0DE1E084
	v_add_u32_e32 v240, s60, v240                              // 00000001DAC0: 69E1E03C
	s_mov_b32 s61, 2                                           // 00000001DAC4: BEBD0082
	s_mul_i32 s60, 16, s7                                      // 00000001DAC8: 923C0790
	v_sub_u32_e64 v240, v240, s61                              // 00000001DACC: D13500F0 00007BF0
	v_add_u32_e32 v240, s60, v240                              // 00000001DAD4: 69E1E03C
	v_add_u32_e32 v241, 1, v240                                // 00000001DAD8: 69E3E081
	v_add_u32_e32 v242, 2, v240                                // 00000001DADC: 69E5E082
	v_add_u32_e32 v243, 3, v240                                // 00000001DAE0: 69E7E083
	v_cmp_le_u32_e64 s[40:41], v240, v64                       // 00000001DAE4: D0CB0028 000281F0
	v_add_u32_e32 v240, 64, v240                               // 00000001DAEC: 69E1E0C0
	s_nop 0                                                    // 00000001DAF0: BF800000
	v_cndmask_b32_e64 v144, v66, v144, s[40:41]                // 00000001DAF4: D1000090 00A32142
	v_cmp_le_u32_e64 s[40:41], v241, v64                       // 00000001DAFC: D0CB0028 000281F1
	v_add_u32_e32 v241, 64, v241                               // 00000001DB04: 69E3E2C0
	s_nop 0                                                    // 00000001DB08: BF800000
	v_cndmask_b32_e64 v145, v66, v145, s[40:41]                // 00000001DB0C: D1000091 00A32342
	v_cmp_le_u32_e64 s[40:41], v242, v64                       // 00000001DB14: D0CB0028 000281F2
	v_add_u32_e32 v242, 64, v242                               // 00000001DB1C: 69E5E4C0
	s_nop 0                                                    // 00000001DB20: BF800000
	v_cndmask_b32_e64 v146, v66, v146, s[40:41]                // 00000001DB24: D1000092 00A32542
	v_cmp_le_u32_e64 s[40:41], v243, v64                       // 00000001DB2C: D0CB0028 000281F3
	v_add_u32_e32 v243, 64, v243                               // 00000001DB34: 69E7E6C0
	s_nop 0                                                    // 00000001DB38: BF800000
	v_cndmask_b32_e64 v147, v66, v147, s[40:41]                // 00000001DB3C: D1000093 00A32742
	v_cmp_le_u32_e64 s[40:41], v240, v64                       // 00000001DB44: D0CB0028 000281F0
	v_add_u32_e32 v240, 64, v240                               // 00000001DB4C: 69E1E0C0
	s_nop 0                                                    // 00000001DB50: BF800000
	v_cndmask_b32_e64 v148, v66, v148, s[40:41]                // 00000001DB54: D1000094 00A32942
	v_cmp_le_u32_e64 s[40:41], v241, v64                       // 00000001DB5C: D0CB0028 000281F1
	v_add_u32_e32 v241, 64, v241                               // 00000001DB64: 69E3E2C0
	s_nop 0                                                    // 00000001DB68: BF800000
	v_cndmask_b32_e64 v149, v66, v149, s[40:41]                // 00000001DB6C: D1000095 00A32B42
	v_cmp_le_u32_e64 s[40:41], v242, v64                       // 00000001DB74: D0CB0028 000281F2
	v_add_u32_e32 v242, 64, v242                               // 00000001DB7C: 69E5E4C0
	s_nop 0                                                    // 00000001DB80: BF800000
	v_cndmask_b32_e64 v150, v66, v150, s[40:41]                // 00000001DB84: D1000096 00A32D42
	v_cmp_le_u32_e64 s[40:41], v243, v64                       // 00000001DB8C: D0CB0028 000281F3
	v_add_u32_e32 v243, 64, v243                               // 00000001DB94: 69E7E6C0
	s_nop 0                                                    // 00000001DB98: BF800000
	v_cndmask_b32_e64 v151, v66, v151, s[40:41]                // 00000001DB9C: D1000097 00A32F42
	v_cmp_le_u32_e64 s[40:41], v240, v64                       // 00000001DBA4: D0CB0028 000281F0
	v_add_u32_e32 v240, 64, v240                               // 00000001DBAC: 69E1E0C0
	s_nop 0                                                    // 00000001DBB0: BF800000
	v_cndmask_b32_e64 v152, v66, v152, s[40:41]                // 00000001DBB4: D1000098 00A33142
	v_cmp_le_u32_e64 s[40:41], v241, v64                       // 00000001DBBC: D0CB0028 000281F1
	v_add_u32_e32 v241, 64, v241                               // 00000001DBC4: 69E3E2C0
	s_nop 0                                                    // 00000001DBC8: BF800000
	v_cndmask_b32_e64 v153, v66, v153, s[40:41]                // 00000001DBCC: D1000099 00A33342
	v_cmp_le_u32_e64 s[40:41], v242, v64                       // 00000001DBD4: D0CB0028 000281F2
	v_add_u32_e32 v242, 64, v242                               // 00000001DBDC: 69E5E4C0
	s_nop 0                                                    // 00000001DBE0: BF800000
	v_cndmask_b32_e64 v154, v66, v154, s[40:41]                // 00000001DBE4: D100009A 00A33542
	v_cmp_le_u32_e64 s[40:41], v243, v64                       // 00000001DBEC: D0CB0028 000281F3
	v_add_u32_e32 v243, 64, v243                               // 00000001DBF4: 69E7E6C0
	s_nop 0                                                    // 00000001DBF8: BF800000
	v_cndmask_b32_e64 v155, v66, v155, s[40:41]                // 00000001DBFC: D100009B 00A33742
	v_cmp_le_u32_e64 s[40:41], v240, v64                       // 00000001DC04: D0CB0028 000281F0
	v_add_u32_e32 v240, 64, v240                               // 00000001DC0C: 69E1E0C0
	s_nop 0                                                    // 00000001DC10: BF800000
	v_cndmask_b32_e64 v156, v66, v156, s[40:41]                // 00000001DC14: D100009C 00A33942
	v_cmp_le_u32_e64 s[40:41], v241, v64                       // 00000001DC1C: D0CB0028 000281F1
	v_add_u32_e32 v241, 64, v241                               // 00000001DC24: 69E3E2C0
	s_nop 0                                                    // 00000001DC28: BF800000
	v_cndmask_b32_e64 v157, v66, v157, s[40:41]                // 00000001DC2C: D100009D 00A33B42
	v_cmp_le_u32_e64 s[40:41], v242, v64                       // 00000001DC34: D0CB0028 000281F2
	v_add_u32_e32 v242, 64, v242                               // 00000001DC3C: 69E5E4C0
	s_nop 0                                                    // 00000001DC40: BF800000
	v_cndmask_b32_e64 v158, v66, v158, s[40:41]                // 00000001DC44: D100009E 00A33D42
	v_cmp_le_u32_e64 s[40:41], v243, v64                       // 00000001DC4C: D0CB0028 000281F3
	v_add_u32_e32 v243, 64, v243                               // 00000001DC54: 69E7E6C0
	s_nop 0                                                    // 00000001DC58: BF800000
	v_cndmask_b32_e64 v159, v66, v159, s[40:41]                // 00000001DC5C: D100009F 00A33F42

000000000001dc64 <label_6E99>:
	s_add_u32 s90, s91, s90                                    // 00000001DC64: 805A5A5B
	s_and_b32 s60, s72, 0xff                                   // 00000001DC68: 863CFF48 000000FF
	v_mov_b32_e32 v65, s60                                     // 00000001DC70: 7E82023C
	v_lshrrev_b32_e32 v240, 4, v0                              // 00000001DC74: 21E00084
	v_mul_i32_i24_e32 v240, 4, v240                            // 00000001DC78: 0DE1E084
	s_mul_i32 s60, s7, 16                                      // 00000001DC7C: 923C9007
	v_add_u32_e32 v240, s60, v240                              // 00000001DC80: 69E1E03C
	v_add_u32_e32 v241, 1, v240                                // 00000001DC84: 69E3E081
	v_add_u32_e32 v242, 2, v240                                // 00000001DC88: 69E5E082
	v_add_u32_e32 v243, 3, v240                                // 00000001DC8C: 69E7E083
	v_mov_b32_e32 v64, 0xff800000                              // 00000001DC90: 7E8002FF FF800000
	v_cmp_lt_u32_e64 s[40:41], v240, v65                       // 00000001DC98: D0C90028 000283F0
	v_add_u32_e32 v240, 64, v240                               // 00000001DCA0: 69E1E0C0
	s_nop 0                                                    // 00000001DCA4: BF800000
	v_cndmask_b32_e64 v144, v64, v144, s[40:41]                // 00000001DCA8: D1000090 00A32140
	v_cmp_lt_u32_e64 s[40:41], v241, v65                       // 00000001DCB0: D0C90028 000283F1
	v_add_u32_e32 v241, 64, v241                               // 00000001DCB8: 69E3E2C0
	s_nop 0                                                    // 00000001DCBC: BF800000
	v_cndmask_b32_e64 v145, v64, v145, s[40:41]                // 00000001DCC0: D1000091 00A32340
	v_cmp_lt_u32_e64 s[40:41], v242, v65                       // 00000001DCC8: D0C90028 000283F2
	v_add_u32_e32 v242, 64, v242                               // 00000001DCD0: 69E5E4C0
	s_nop 0                                                    // 00000001DCD4: BF800000
	v_cndmask_b32_e64 v146, v64, v146, s[40:41]                // 00000001DCD8: D1000092 00A32540
	v_cmp_lt_u32_e64 s[40:41], v243, v65                       // 00000001DCE0: D0C90028 000283F3
	v_add_u32_e32 v243, 64, v243                               // 00000001DCE8: 69E7E6C0
	s_nop 0                                                    // 00000001DCEC: BF800000
	v_cndmask_b32_e64 v147, v64, v147, s[40:41]                // 00000001DCF0: D1000093 00A32740
	v_cmp_lt_u32_e64 s[40:41], v240, v65                       // 00000001DCF8: D0C90028 000283F0
	v_add_u32_e32 v240, 64, v240                               // 00000001DD00: 69E1E0C0
	s_nop 0                                                    // 00000001DD04: BF800000
	v_cndmask_b32_e64 v148, v64, v148, s[40:41]                // 00000001DD08: D1000094 00A32940
	v_cmp_lt_u32_e64 s[40:41], v241, v65                       // 00000001DD10: D0C90028 000283F1
	v_add_u32_e32 v241, 64, v241                               // 00000001DD18: 69E3E2C0
	s_nop 0                                                    // 00000001DD1C: BF800000
	v_cndmask_b32_e64 v149, v64, v149, s[40:41]                // 00000001DD20: D1000095 00A32B40
	v_cmp_lt_u32_e64 s[40:41], v242, v65                       // 00000001DD28: D0C90028 000283F2
	v_add_u32_e32 v242, 64, v242                               // 00000001DD30: 69E5E4C0
	s_nop 0                                                    // 00000001DD34: BF800000
	v_cndmask_b32_e64 v150, v64, v150, s[40:41]                // 00000001DD38: D1000096 00A32D40
	v_cmp_lt_u32_e64 s[40:41], v243, v65                       // 00000001DD40: D0C90028 000283F3
	v_add_u32_e32 v243, 64, v243                               // 00000001DD48: 69E7E6C0
	s_nop 0                                                    // 00000001DD4C: BF800000
	v_cndmask_b32_e64 v151, v64, v151, s[40:41]                // 00000001DD50: D1000097 00A32F40
	v_cmp_lt_u32_e64 s[40:41], v240, v65                       // 00000001DD58: D0C90028 000283F0
	v_add_u32_e32 v240, 64, v240                               // 00000001DD60: 69E1E0C0
	s_nop 0                                                    // 00000001DD64: BF800000
	v_cndmask_b32_e64 v152, v64, v152, s[40:41]                // 00000001DD68: D1000098 00A33140
	v_cmp_lt_u32_e64 s[40:41], v241, v65                       // 00000001DD70: D0C90028 000283F1
	v_add_u32_e32 v241, 64, v241                               // 00000001DD78: 69E3E2C0
	s_nop 0                                                    // 00000001DD7C: BF800000
	v_cndmask_b32_e64 v153, v64, v153, s[40:41]                // 00000001DD80: D1000099 00A33340
	v_cmp_lt_u32_e64 s[40:41], v242, v65                       // 00000001DD88: D0C90028 000283F2
	v_add_u32_e32 v242, 64, v242                               // 00000001DD90: 69E5E4C0
	s_nop 0                                                    // 00000001DD94: BF800000
	v_cndmask_b32_e64 v154, v64, v154, s[40:41]                // 00000001DD98: D100009A 00A33540
	v_cmp_lt_u32_e64 s[40:41], v243, v65                       // 00000001DDA0: D0C90028 000283F3
	v_add_u32_e32 v243, 64, v243                               // 00000001DDA8: 69E7E6C0
	s_nop 0                                                    // 00000001DDAC: BF800000
	v_cndmask_b32_e64 v155, v64, v155, s[40:41]                // 00000001DDB0: D100009B 00A33740
	v_cmp_lt_u32_e64 s[40:41], v240, v65                       // 00000001DDB8: D0C90028 000283F0
	v_add_u32_e32 v240, 64, v240                               // 00000001DDC0: 69E1E0C0
	s_nop 0                                                    // 00000001DDC4: BF800000
	v_cndmask_b32_e64 v156, v64, v156, s[40:41]                // 00000001DDC8: D100009C 00A33940
	v_cmp_lt_u32_e64 s[40:41], v241, v65                       // 00000001DDD0: D0C90028 000283F1
	v_add_u32_e32 v241, 64, v241                               // 00000001DDD8: 69E3E2C0
	s_nop 0                                                    // 00000001DDDC: BF800000
	v_cndmask_b32_e64 v157, v64, v157, s[40:41]                // 00000001DDE0: D100009D 00A33B40
	v_cmp_lt_u32_e64 s[40:41], v242, v65                       // 00000001DDE8: D0C90028 000283F2
	v_add_u32_e32 v242, 64, v242                               // 00000001DDF0: 69E5E4C0
	s_nop 0                                                    // 00000001DDF4: BF800000
	v_cndmask_b32_e64 v158, v64, v158, s[40:41]                // 00000001DDF8: D100009E 00A33D40
	v_cmp_lt_u32_e64 s[40:41], v243, v65                       // 00000001DE00: D0C90028 000283F3
	v_add_u32_e32 v243, 64, v243                               // 00000001DE08: 69E7E6C0
	s_nop 0                                                    // 00000001DE0C: BF800000
	v_cndmask_b32_e64 v159, v64, v159, s[40:41]                // 00000001DE10: D100009F 00A33F40
	v_mov_b32_e32 v48, v144                                    // 00000001DE18: 7E600390
	v_max3_f32 v48, v144, v145, v48                            // 00000001DE1C: D1D30030 04C32390
	v_max3_f32 v48, v146, v147, v48                            // 00000001DE24: D1D30030 04C32792
	v_max3_f32 v48, v148, v149, v48                            // 00000001DE2C: D1D30030 04C32B94
	v_max3_f32 v48, v150, v151, v48                            // 00000001DE34: D1D30030 04C32F96
	v_max3_f32 v48, v152, v153, v48                            // 00000001DE3C: D1D30030 04C33398
	v_max3_f32 v48, v154, v155, v48                            // 00000001DE44: D1D30030 04C3379A
	v_max3_f32 v48, v156, v157, v48                            // 00000001DE4C: D1D30030 04C33B9C
	v_max3_f32 v48, v158, v159, v48                            // 00000001DE54: D1D30030 04C33F9E
	ds_write_b32 v8, v48 offset:16896                          // 00000001DE5C: D81A4200 00003008
	v_mul_f32_e32 v224, v51, v224                              // 00000001DE64: 0BC1C133
	v_mul_f32_e32 v225, v51, v225                              // 00000001DE68: 0BC3C333
	v_mul_f32_e32 v226, v51, v226                              // 00000001DE6C: 0BC5C533
	v_mul_f32_e32 v227, v51, v227                              // 00000001DE70: 0BC7C733
	v_mul_f32_e32 v228, v51, v228                              // 00000001DE74: 0BC9C933
	v_mul_f32_e32 v229, v51, v229                              // 00000001DE78: 0BCBCB33
	v_mul_f32_e32 v230, v51, v230                              // 00000001DE7C: 0BCDCD33
	v_mul_f32_e32 v231, v51, v231                              // 00000001DE80: 0BCFCF33
	s_waitcnt lgkmcnt(0)                                       // 00000001DE84: BF8CC07F
	s_barrier                                                  // 00000001DE88: BF8A0000
	ds_read_b32 v64, v7 offset:16896                           // 00000001DE8C: D86C4200 40000007
	ds_read_b32 v65, v7 offset:16960                           // 00000001DE94: D86C4240 41000007
	ds_read_b32 v66, v7 offset:17024                           // 00000001DE9C: D86C4280 42000007
	ds_read_b32 v67, v7 offset:17088                           // 00000001DEA4: D86C42C0 43000007
	ds_read_b32 v68, v7 offset:17152                           // 00000001DEAC: D86C4300 44000007
	ds_read_b32 v69, v7 offset:17216                           // 00000001DEB4: D86C4340 45000007
	ds_read_b32 v70, v7 offset:17280                           // 00000001DEBC: D86C4380 46000007
	ds_read_b32 v71, v7 offset:17344                           // 00000001DEC4: D86C43C0 47000007
	ds_read_b32 v72, v7 offset:17408                           // 00000001DECC: D86C4400 48000007
	ds_read_b32 v73, v7 offset:17472                           // 00000001DED4: D86C4440 49000007
	ds_read_b32 v74, v7 offset:17536                           // 00000001DEDC: D86C4480 4A000007
	ds_read_b32 v75, v7 offset:17600                           // 00000001DEE4: D86C44C0 4B000007
	ds_read_b32 v76, v7 offset:17664                           // 00000001DEEC: D86C4500 4C000007
	ds_read_b32 v77, v7 offset:17728                           // 00000001DEF4: D86C4540 4D000007
	ds_read_b32 v78, v7 offset:17792                           // 00000001DEFC: D86C4580 4E000007
	ds_read_b32 v79, v7 offset:17856                           // 00000001DF04: D86C45C0 4F000007
	v_cvt_f32_i32_e32 v192, v192                               // 00000001DF0C: 7F800BC0
	v_cvt_f32_i32_e32 v193, v193                               // 00000001DF10: 7F820BC1
	v_cvt_f32_i32_e32 v194, v194                               // 00000001DF14: 7F840BC2
	v_cvt_f32_i32_e32 v195, v195                               // 00000001DF18: 7F860BC3
	v_cvt_f32_i32_e32 v196, v196                               // 00000001DF1C: 7F880BC4
	v_cvt_f32_i32_e32 v197, v197                               // 00000001DF20: 7F8A0BC5
	v_cvt_f32_i32_e32 v198, v198                               // 00000001DF24: 7F8C0BC6
	v_cvt_f32_i32_e32 v199, v199                               // 00000001DF28: 7F8E0BC7
	v_mul_f32_e32 v192, v46, v192                              // 00000001DF2C: 0B81812E
	v_mul_f32_e32 v193, v46, v193                              // 00000001DF30: 0B83832E
	v_mul_f32_e32 v194, v46, v194                              // 00000001DF34: 0B85852E
	v_mul_f32_e32 v195, v46, v195                              // 00000001DF38: 0B87872E
	v_mul_f32_e32 v196, v46, v196                              // 00000001DF3C: 0B89892E
	v_mul_f32_e32 v197, v46, v197                              // 00000001DF40: 0B8B8B2E
	v_mul_f32_e32 v198, v46, v198                              // 00000001DF44: 0B8D8D2E
	v_mul_f32_e32 v199, v46, v199                              // 00000001DF48: 0B8F8F2E
	s_waitcnt lgkmcnt(0)                                       // 00000001DF4C: BF8CC07F
	v_max3_f32 v48, v64, v65, v48                              // 00000001DF50: D1D30030 04C28340
	v_max3_f32 v48, v66, v67, v48                              // 00000001DF58: D1D30030 04C28742
	v_max3_f32 v48, v68, v69, v48                              // 00000001DF60: D1D30030 04C28B44
	v_max3_f32 v48, v70, v71, v48                              // 00000001DF68: D1D30030 04C28F46
	v_max3_f32 v48, v72, v73, v48                              // 00000001DF70: D1D30030 04C29348
	v_max3_f32 v48, v74, v75, v48                              // 00000001DF78: D1D30030 04C2974A
	v_max3_f32 v48, v76, v77, v48                              // 00000001DF80: D1D30030 04C29B4C
	v_max3_f32 v48, v78, v79, v48                              // 00000001DF88: D1D30030 04C29F4E
	v_mov_b32_e32 v64, 0xff800000                              // 00000001DF90: 7E8002FF FF800000
	v_cmp_eq_u32_e64 s[40:41], v64, v13                        // 00000001DF98: D0CA0028 00021B40
	s_nop 1                                                    // 00000001DFA0: BF800001
	v_max_f32_e32 v15, v48, v13                                // 00000001DFA4: 161E1B30
	v_mul_f32_e32 v53, s64, v15                                // 00000001DFA8: 0A6A1E40
	v_fma_f32 v144, v144, s64, -v53                            // 00000001DFAC: D1CB0090 84D48190
	v_fma_f32 v145, v145, s64, -v53                            // 00000001DFB4: D1CB0091 84D48191
	v_fma_f32 v146, v146, s64, -v53                            // 00000001DFBC: D1CB0092 84D48192
	v_fma_f32 v147, v147, s64, -v53                            // 00000001DFC4: D1CB0093 84D48193
	v_fma_f32 v148, v148, s64, -v53                            // 00000001DFCC: D1CB0094 84D48194
	v_fma_f32 v149, v149, s64, -v53                            // 00000001DFD4: D1CB0095 84D48195
	v_fma_f32 v150, v150, s64, -v53                            // 00000001DFDC: D1CB0096 84D48196
	v_fma_f32 v151, v151, s64, -v53                            // 00000001DFE4: D1CB0097 84D48197
	v_fma_f32 v152, v152, s64, -v53                            // 00000001DFEC: D1CB0098 84D48198
	v_fma_f32 v153, v153, s64, -v53                            // 00000001DFF4: D1CB0099 84D48199
	v_fma_f32 v154, v154, s64, -v53                            // 00000001DFFC: D1CB009A 84D4819A
	v_fma_f32 v155, v155, s64, -v53                            // 00000001E004: D1CB009B 84D4819B
	v_fma_f32 v156, v156, s64, -v53                            // 00000001E00C: D1CB009C 84D4819C
	v_fma_f32 v157, v157, s64, -v53                            // 00000001E014: D1CB009D 84D4819D
	v_fma_f32 v158, v158, s64, -v53                            // 00000001E01C: D1CB009E 84D4819E
	v_fma_f32 v159, v159, s64, -v53                            // 00000001E024: D1CB009F 84D4819F
	v_exp_f32_e32 v144, v144                                   // 00000001E02C: 7F204190
	v_exp_f32_e32 v145, v145                                   // 00000001E030: 7F224191
	v_exp_f32_e32 v146, v146                                   // 00000001E034: 7F244192
	v_exp_f32_e32 v147, v147                                   // 00000001E038: 7F264193
	v_exp_f32_e32 v148, v148                                   // 00000001E03C: 7F284194
	v_exp_f32_e32 v149, v149                                   // 00000001E040: 7F2A4195
	v_exp_f32_e32 v150, v150                                   // 00000001E044: 7F2C4196
	v_exp_f32_e32 v151, v151                                   // 00000001E048: 7F2E4197
	v_exp_f32_e32 v152, v152                                   // 00000001E04C: 7F304198
	v_exp_f32_e32 v153, v153                                   // 00000001E050: 7F324199
	v_exp_f32_e32 v154, v154                                   // 00000001E054: 7F34419A
	v_exp_f32_e32 v155, v155                                   // 00000001E058: 7F36419B
	v_exp_f32_e32 v156, v156                                   // 00000001E05C: 7F38419C
	v_exp_f32_e32 v157, v157                                   // 00000001E060: 7F3A419D
	v_exp_f32_e32 v158, v158                                   // 00000001E064: 7F3C419E
	v_exp_f32_e32 v159, v159                                   // 00000001E068: 7F3E419F
	v_mul_f32_dpp v240, v252, v144 quad_perm:[0,0,0,0] row_mask:0xf bank_mask:0xf// 00000001E06C: 0BE120FA FF0000FC
	v_mul_f32_dpp v241, v252, v145 quad_perm:[1,1,1,1] row_mask:0xf bank_mask:0xf// 00000001E074: 0BE322FA FF0055FC
	v_mul_f32_dpp v242, v252, v146 quad_perm:[2,2,2,2] row_mask:0xf bank_mask:0xf// 00000001E07C: 0BE524FA FF00AAFC
	v_mul_f32_dpp v243, v252, v147 quad_perm:[3,3,3,3] row_mask:0xf bank_mask:0xf// 00000001E084: 0BE726FA FF00FFFC
	v_mul_f32_dpp v244, v253, v148 quad_perm:[0,0,0,0] row_mask:0xf bank_mask:0xf// 00000001E08C: 0BE928FA FF0000FD
	v_mul_f32_dpp v245, v253, v149 quad_perm:[1,1,1,1] row_mask:0xf bank_mask:0xf// 00000001E094: 0BEB2AFA FF0055FD
	v_mul_f32_dpp v246, v253, v150 quad_perm:[2,2,2,2] row_mask:0xf bank_mask:0xf// 00000001E09C: 0BED2CFA FF00AAFD
	v_mul_f32_dpp v247, v253, v151 quad_perm:[3,3,3,3] row_mask:0xf bank_mask:0xf// 00000001E0A4: 0BEF2EFA FF00FFFD
	v_mul_f32_dpp v248, v254, v152 quad_perm:[0,0,0,0] row_mask:0xf bank_mask:0xf// 00000001E0AC: 0BF130FA FF0000FE
	v_mul_f32_dpp v249, v254, v153 quad_perm:[1,1,1,1] row_mask:0xf bank_mask:0xf// 00000001E0B4: 0BF332FA FF0055FE
	v_mul_f32_dpp v250, v254, v154 quad_perm:[2,2,2,2] row_mask:0xf bank_mask:0xf// 00000001E0BC: 0BF534FA FF00AAFE
	v_mul_f32_dpp v251, v254, v155 quad_perm:[3,3,3,3] row_mask:0xf bank_mask:0xf// 00000001E0C4: 0BF736FA FF00FFFE
	v_mul_f32_dpp v252, v255, v156 quad_perm:[0,0,0,0] row_mask:0xf bank_mask:0xf// 00000001E0CC: 0BF938FA FF0000FF
	v_mul_f32_dpp v253, v255, v157 quad_perm:[1,1,1,1] row_mask:0xf bank_mask:0xf// 00000001E0D4: 0BFB3AFA FF0055FF
	v_mul_f32_dpp v254, v255, v158 quad_perm:[2,2,2,2] row_mask:0xf bank_mask:0xf// 00000001E0DC: 0BFD3CFA FF00AAFF
	v_mul_f32_dpp v255, v255, v159 quad_perm:[3,3,3,3] row_mask:0xf bank_mask:0xf// 00000001E0E4: 0BFF3EFA FF00FFFF
	v_mov_b32_e32 v48, 0x358637bd                              // 00000001E0EC: 7E6002FF 358637BD
	v_max3_f32 v48, |v240|, |v241|, v48                        // 00000001E0F4: D1D30330 04C3E3F0
	v_max3_f32 v48, |v242|, |v243|, v48                        // 00000001E0FC: D1D30330 04C3E7F2
	v_max3_f32 v48, |v244|, |v245|, v48                        // 00000001E104: D1D30330 04C3EBF4
	v_max3_f32 v48, |v246|, |v247|, v48                        // 00000001E10C: D1D30330 04C3EFF6
	v_max3_f32 v48, |v248|, |v249|, v48                        // 00000001E114: D1D30330 04C3F3F8
	v_max3_f32 v48, |v250|, |v251|, v48                        // 00000001E11C: D1D30330 04C3F7FA
	v_max3_f32 v48, |v252|, |v253|, v48                        // 00000001E124: D1D30330 04C3FBFC
	v_max3_f32 v48, |v254|, |v255|, v48                        // 00000001E12C: D1D30330 04C3FFFE
	ds_write_b32 v8, v48 offset:20992                          // 00000001E134: D81A5200 00003008
	v_sub_f32_e32 v51, v13, v15                                // 00000001E13C: 04661F0D
	v_cndmask_b32_e64 v51, v51, 0, s[40:41]                    // 00000001E140: D1000033 00A10133
	v_mov_b32_e32 v13, v15                                     // 00000001E148: 7E1A030F
	v_mul_f32_e32 v51, s64, v51                                // 00000001E14C: 0A666640
	v_exp_f32_e32 v51, v51                                     // 00000001E150: 7E664133
	s_waitcnt lgkmcnt(0)                                       // 00000001E154: BF8CC07F
	s_barrier                                                  // 00000001E158: BF8A0000
	ds_read_b32 v64, v7 offset:20992                           // 00000001E15C: D86C5200 40000007
	ds_read_b32 v65, v7 offset:21056                           // 00000001E164: D86C5240 41000007
	ds_read_b32 v66, v7 offset:21120                           // 00000001E16C: D86C5280 42000007
	ds_read_b32 v67, v7 offset:21184                           // 00000001E174: D86C52C0 43000007
	ds_read_b32 v68, v7 offset:21248                           // 00000001E17C: D86C5300 44000007
	ds_read_b32 v69, v7 offset:21312                           // 00000001E184: D86C5340 45000007
	ds_read_b32 v70, v7 offset:21376                           // 00000001E18C: D86C5380 46000007
	ds_read_b32 v71, v7 offset:21440                           // 00000001E194: D86C53C0 47000007
	ds_read_b32 v72, v7 offset:21504                           // 00000001E19C: D86C5400 48000007
	ds_read_b32 v73, v7 offset:21568                           // 00000001E1A4: D86C5440 49000007
	ds_read_b32 v74, v7 offset:21632                           // 00000001E1AC: D86C5480 4A000007
	ds_read_b32 v75, v7 offset:21696                           // 00000001E1B4: D86C54C0 4B000007
	ds_read_b32 v76, v7 offset:21760                           // 00000001E1BC: D86C5500 4C000007
	ds_read_b32 v77, v7 offset:21824                           // 00000001E1C4: D86C5540 4D000007
	ds_read_b32 v78, v7 offset:21888                           // 00000001E1CC: D86C5580 4E000007
	ds_read_b32 v79, v7 offset:21952                           // 00000001E1D4: D86C55C0 4F000007
	v_mul_f32_e32 v40, v51, v40                                // 00000001E1DC: 0A505133
	v_mov_b32_e32 v15, v144                                    // 00000001E1E0: 7E1E0390
	v_add_f32_e32 v15, v145, v15                               // 00000001E1E4: 021E1F91
	v_add_f32_e32 v15, v146, v15                               // 00000001E1E8: 021E1F92
	v_add_f32_e32 v15, v147, v15                               // 00000001E1EC: 021E1F93
	v_add_f32_e32 v15, v148, v15                               // 00000001E1F0: 021E1F94
	v_add_f32_e32 v15, v149, v15                               // 00000001E1F4: 021E1F95
	v_add_f32_e32 v15, v150, v15                               // 00000001E1F8: 021E1F96
	v_add_f32_e32 v15, v151, v15                               // 00000001E1FC: 021E1F97
	v_add_f32_e32 v15, v152, v15                               // 00000001E200: 021E1F98
	v_add_f32_e32 v15, v153, v15                               // 00000001E204: 021E1F99
	v_add_f32_e32 v15, v154, v15                               // 00000001E208: 021E1F9A
	v_add_f32_e32 v15, v155, v15                               // 00000001E20C: 021E1F9B
	v_add_f32_e32 v15, v156, v15                               // 00000001E210: 021E1F9C
	v_add_f32_e32 v15, v157, v15                               // 00000001E214: 021E1F9D
	v_add_f32_e32 v15, v158, v15                               // 00000001E218: 021E1F9E
	v_add_f32_e32 v15, v159, v15                               // 00000001E21C: 021E1F9F
	v_add_f32_e32 v40, v15, v40                                // 00000001E220: 0250510F
	s_waitcnt lgkmcnt(0)                                       // 00000001E224: BF8CC07F
	v_max3_f32 v48, |v64|, |v65|, v48                          // 00000001E228: D1D30330 04C28340
	v_max3_f32 v48, |v66|, |v67|, v48                          // 00000001E230: D1D30330 04C28742
	v_max3_f32 v48, |v68|, |v69|, v48                          // 00000001E238: D1D30330 04C28B44
	v_max3_f32 v48, |v70|, |v71|, v48                          // 00000001E240: D1D30330 04C28F46
	v_max3_f32 v48, |v72|, |v73|, v48                          // 00000001E248: D1D30330 04C29348
	v_max3_f32 v48, |v74|, |v75|, v48                          // 00000001E250: D1D30330 04C2974A
	v_max3_f32 v48, |v76|, |v77|, v48                          // 00000001E258: D1D30330 04C29B4C
	v_max3_f32 v48, |v78|, |v79|, v48                          // 00000001E260: D1D30330 04C29F4E
	s_nop 2                                                    // 00000001E268: BF800002
	v_rcp_f32_e32 v48, v48                                     // 00000001E26C: 7E604530
	s_nop 1                                                    // 00000001E270: BF800001
	v_mul_f32_e32 v48, 0x42fe0000, v48                         // 00000001E274: 0A6060FF 42FE0000
	v_mul_f32_e32 v144, v48, v240                              // 00000001E27C: 0B21E130
	v_mul_f32_e32 v145, v48, v241                              // 00000001E280: 0B23E330
	v_mul_f32_e32 v146, v48, v242                              // 00000001E284: 0B25E530
	v_mul_f32_e32 v147, v48, v243                              // 00000001E288: 0B27E730
	v_mul_f32_e32 v148, v48, v244                              // 00000001E28C: 0B29E930
	v_mul_f32_e32 v149, v48, v245                              // 00000001E290: 0B2BEB30
	v_mul_f32_e32 v150, v48, v246                              // 00000001E294: 0B2DED30
	v_mul_f32_e32 v151, v48, v247                              // 00000001E298: 0B2FEF30
	v_mul_f32_e32 v152, v48, v248                              // 00000001E29C: 0B31F130
	v_mul_f32_e32 v153, v48, v249                              // 00000001E2A0: 0B33F330
	v_mul_f32_e32 v154, v48, v250                              // 00000001E2A4: 0B35F530
	v_mul_f32_e32 v155, v48, v251                              // 00000001E2A8: 0B37F730
	v_mul_f32_e32 v156, v48, v252                              // 00000001E2AC: 0B39F930
	v_mul_f32_e32 v157, v48, v253                              // 00000001E2B0: 0B3BFB30
	v_mul_f32_e32 v158, v48, v254                              // 00000001E2B4: 0B3DFD30
	v_mul_f32_e32 v159, v48, v255                              // 00000001E2B8: 0B3FFF30
	v_cvt_i32_f32_e32 v144, v144                               // 00000001E2BC: 7F201190
	v_cvt_i32_f32_e32 v145, v145                               // 00000001E2C0: 7F221191
	v_cvt_i32_f32_e32 v146, v146                               // 00000001E2C4: 7F241192
	v_cvt_i32_f32_e32 v147, v147                               // 00000001E2C8: 7F261193
	v_cvt_i32_f32_e32 v148, v148                               // 00000001E2CC: 7F281194
	v_cvt_i32_f32_e32 v149, v149                               // 00000001E2D0: 7F2A1195
	v_cvt_i32_f32_e32 v150, v150                               // 00000001E2D4: 7F2C1196
	v_cvt_i32_f32_e32 v151, v151                               // 00000001E2D8: 7F2E1197
	v_cvt_i32_f32_e32 v152, v152                               // 00000001E2DC: 7F301198
	v_cvt_i32_f32_e32 v153, v153                               // 00000001E2E0: 7F321199
	v_cvt_i32_f32_e32 v154, v154                               // 00000001E2E4: 7F34119A
	v_cvt_i32_f32_e32 v155, v155                               // 00000001E2E8: 7F36119B
	v_cvt_i32_f32_e32 v156, v156                               // 00000001E2EC: 7F38119C
	v_cvt_i32_f32_e32 v157, v157                               // 00000001E2F0: 7F3A119D
	v_cvt_i32_f32_e32 v158, v158                               // 00000001E2F4: 7F3C119E
	v_cvt_i32_f32_e32 v159, v159                               // 00000001E2F8: 7F3E119F
	v_perm_b32 v144, v145, v144, s53                           // 00000001E2FC: D1ED0090 00D72191
	v_perm_b32 v144, v146, v144, s54                           // 00000001E304: D1ED0090 00DB2192
	v_perm_b32 v144, v147, v144, s55                           // 00000001E30C: D1ED0090 00DF2193
	v_perm_b32 v145, v149, v148, s53                           // 00000001E314: D1ED0091 00D72995
	v_perm_b32 v145, v150, v145, s54                           // 00000001E31C: D1ED0091 00DB2396
	v_perm_b32 v145, v151, v145, s55                           // 00000001E324: D1ED0091 00DF2397
	v_perm_b32 v146, v153, v152, s53                           // 00000001E32C: D1ED0092 00D73199
	v_perm_b32 v146, v154, v146, s54                           // 00000001E334: D1ED0092 00DB259A
	v_perm_b32 v146, v155, v146, s55                           // 00000001E33C: D1ED0092 00DF259B
	v_perm_b32 v147, v157, v156, s53                           // 00000001E344: D1ED0093 00D7399D
	v_perm_b32 v147, v158, v147, s54                           // 00000001E34C: D1ED0093 00DB279E
	v_perm_b32 v147, v159, v147, s55                           // 00000001E354: D1ED0093 00DF279F
	ds_write_b32 v10, v144 offset:33280                        // 00000001E35C: D81A8200 0000900A
	ds_write_b32 v10, v145 offset:34304                        // 00000001E364: D81A8600 0000910A
	ds_write_b32 v10, v146 offset:35328                        // 00000001E36C: D81A8A00 0000920A
	ds_write_b32 v10, v147 offset:36352                        // 00000001E374: D81A8E00 0000930A
	v_add_f32_e32 v224, v224, v192                             // 00000001E37C: 03C181E0
	v_add_f32_e32 v225, v225, v193                             // 00000001E380: 03C383E1
	v_add_f32_e32 v226, v226, v194                             // 00000001E384: 03C585E2
	v_add_f32_e32 v227, v227, v195                             // 00000001E388: 03C787E3
	v_add_f32_e32 v228, v228, v196                             // 00000001E38C: 03C989E4
	v_add_f32_e32 v229, v229, v197                             // 00000001E390: 03CB8BE5
	v_add_f32_e32 v230, v230, v198                             // 00000001E394: 03CD8DE6
	v_add_f32_e32 v231, v231, v199                             // 00000001E398: 03CF8FE7
	v_rcp_f32_e32 v46, v48                                     // 00000001E39C: 7E5C4530
	s_waitcnt lgkmcnt(0)                                       // 00000001E3A0: BF8CC07F
	s_barrier                                                  // 00000001E3A4: BF8A0000
	ds_read_b64 v[144:145], v9 offset:33280                    // 00000001E3A8: D8EC8200 90000009
	ds_read_b64 v[146:147], v9 offset:33408                    // 00000001E3B0: D8EC8280 92000009
	ds_read_b64 v[148:149], v9 offset:34304                    // 00000001E3B8: D8EC8600 94000009
	ds_read_b64 v[150:151], v9 offset:34432                    // 00000001E3C0: D8EC8680 96000009
	ds_read_b64 v[152:153], v9 offset:35328                    // 00000001E3C8: D8EC8A00 98000009
	ds_read_b64 v[154:155], v9 offset:35456                    // 00000001E3D0: D8EC8A80 9A000009
	ds_read_b64 v[156:157], v9 offset:36352                    // 00000001E3D8: D8EC8E00 9C000009
	ds_read_b64 v[158:159], v9 offset:36480                    // 00000001E3E0: D8EC8E80 9E000009
	s_waitcnt vmcnt(0)                                         // 00000001E3E8: BF8C0F70
	s_barrier                                                  // 00000001E3EC: BF8A0000
	v_mfma_i32_16x16x32_i8 v[176:179], a[96:97], v[112:113], 0 // 00000001E3F0: D3D700B0 0A02E160
	v_mfma_i32_16x16x32_i8 v[176:179], a[98:99], v[114:115], v[176:179]// 00000001E3F8: D3D700B0 0EC2E562
	v_mfma_i32_16x16x32_i8 v[176:179], a[100:101], v[116:117], v[176:179]// 00000001E400: D3D700B0 0EC2E964
	v_mfma_i32_16x16x32_i8 v[176:179], a[102:103], v[118:119], v[176:179]// 00000001E408: D3D700B0 0EC2ED66
	v_mfma_i32_16x16x32_i8 v[176:179], a[104:105], v[120:121], v[176:179]// 00000001E410: D3D700B0 0EC2F168
	v_mfma_i32_16x16x32_i8 v[176:179], a[106:107], v[122:123], v[176:179]// 00000001E418: D3D700B0 0EC2F56A
	v_mfma_i32_16x16x32_i8 v[176:179], a[108:109], v[124:125], v[176:179]// 00000001E420: D3D700B0 0EC2F96C
	v_mfma_i32_16x16x32_i8 v[176:179], a[110:111], v[126:127], v[176:179]// 00000001E428: D3D700B0 0EC2FD6E
	v_mfma_i32_16x16x32_i8 v[180:183], a[112:113], v[112:113], 0// 00000001E430: D3D700B4 0A02E170
	v_mfma_i32_16x16x32_i8 v[180:183], a[114:115], v[114:115], v[180:183]// 00000001E438: D3D700B4 0ED2E572
	v_mfma_i32_16x16x32_i8 v[180:183], a[116:117], v[116:117], v[180:183]// 00000001E440: D3D700B4 0ED2E974
	v_mfma_i32_16x16x32_i8 v[180:183], a[118:119], v[118:119], v[180:183]// 00000001E448: D3D700B4 0ED2ED76
	v_mfma_i32_16x16x32_i8 v[180:183], a[120:121], v[120:121], v[180:183]// 00000001E450: D3D700B4 0ED2F178
	v_mfma_i32_16x16x32_i8 v[180:183], a[122:123], v[122:123], v[180:183]// 00000001E458: D3D700B4 0ED2F57A
	v_mfma_i32_16x16x32_i8 v[180:183], a[124:125], v[124:125], v[180:183]// 00000001E460: D3D700B4 0ED2F97C
	v_mfma_i32_16x16x32_i8 v[180:183], a[126:127], v[126:127], v[180:183]// 00000001E468: D3D700B4 0ED2FD7E
	v_mfma_i32_16x16x32_i8 v[184:187], a[96:97], v[128:129], 0 // 00000001E470: D3D700B8 0A030160
	v_mfma_i32_16x16x32_i8 v[184:187], a[98:99], v[130:131], v[184:187]// 00000001E478: D3D700B8 0EE30562
	v_mfma_i32_16x16x32_i8 v[184:187], a[100:101], v[132:133], v[184:187]// 00000001E480: D3D700B8 0EE30964
	v_mfma_i32_16x16x32_i8 v[184:187], a[102:103], v[134:135], v[184:187]// 00000001E488: D3D700B8 0EE30D66
	v_mfma_i32_16x16x32_i8 v[184:187], a[104:105], v[136:137], v[184:187]// 00000001E490: D3D700B8 0EE31168
	v_mfma_i32_16x16x32_i8 v[184:187], a[106:107], v[138:139], v[184:187]// 00000001E498: D3D700B8 0EE3156A
	v_mfma_i32_16x16x32_i8 v[184:187], a[108:109], v[140:141], v[184:187]// 00000001E4A0: D3D700B8 0EE3196C
	v_mfma_i32_16x16x32_i8 v[184:187], a[110:111], v[142:143], v[184:187]// 00000001E4A8: D3D700B8 0EE31D6E
	v_mfma_i32_16x16x32_i8 v[188:191], a[112:113], v[128:129], 0// 00000001E4B0: D3D700BC 0A030170
	v_mfma_i32_16x16x32_i8 v[188:191], a[114:115], v[130:131], v[188:191]// 00000001E4B8: D3D700BC 0EF30572
	v_mfma_i32_16x16x32_i8 v[188:191], a[116:117], v[132:133], v[188:191]// 00000001E4C0: D3D700BC 0EF30974
	v_mfma_i32_16x16x32_i8 v[188:191], a[118:119], v[134:135], v[188:191]// 00000001E4C8: D3D700BC 0EF30D76
	v_mfma_i32_16x16x32_i8 v[188:191], a[120:121], v[136:137], v[188:191]// 00000001E4D0: D3D700BC 0EF31178
	v_mfma_i32_16x16x32_i8 v[188:191], a[122:123], v[138:139], v[188:191]// 00000001E4D8: D3D700BC 0EF3157A
	v_mfma_i32_16x16x32_i8 v[188:191], a[124:125], v[140:141], v[188:191]// 00000001E4E0: D3D700BC 0EF3197C
	v_mfma_i32_16x16x32_i8 v[188:191], a[126:127], v[142:143], v[188:191]// 00000001E4E8: D3D700BC 0EF31D7E
	v_mfma_i32_16x16x32_i8 v[192:195], a[96:97], v[144:145], 0 // 00000001E4F0: D3D700C0 0A032160
	v_mfma_i32_16x16x32_i8 v[192:195], a[98:99], v[146:147], v[192:195]// 00000001E4F8: D3D700C0 0F032562
	v_mfma_i32_16x16x32_i8 v[192:195], a[100:101], v[148:149], v[192:195]// 00000001E500: D3D700C0 0F032964
	v_mfma_i32_16x16x32_i8 v[192:195], a[102:103], v[150:151], v[192:195]// 00000001E508: D3D700C0 0F032D66
	v_mfma_i32_16x16x32_i8 v[192:195], a[104:105], v[152:153], v[192:195]// 00000001E510: D3D700C0 0F033168
	v_mfma_i32_16x16x32_i8 v[192:195], a[106:107], v[154:155], v[192:195]// 00000001E518: D3D700C0 0F03356A
	v_mfma_i32_16x16x32_i8 v[192:195], a[108:109], v[156:157], v[192:195]// 00000001E520: D3D700C0 0F03396C
	v_mfma_i32_16x16x32_i8 v[192:195], a[110:111], v[158:159], v[192:195]// 00000001E528: D3D700C0 0F033D6E
	v_mfma_i32_16x16x32_i8 v[196:199], a[112:113], v[144:145], 0// 00000001E530: D3D700C4 0A032170
	v_mfma_i32_16x16x32_i8 v[196:199], a[114:115], v[146:147], v[196:199]// 00000001E538: D3D700C4 0F132572
	v_mfma_i32_16x16x32_i8 v[196:199], a[116:117], v[148:149], v[196:199]// 00000001E540: D3D700C4 0F132974
	v_mfma_i32_16x16x32_i8 v[196:199], a[118:119], v[150:151], v[196:199]// 00000001E548: D3D700C4 0F132D76
	v_mfma_i32_16x16x32_i8 v[196:199], a[120:121], v[152:153], v[196:199]// 00000001E550: D3D700C4 0F133178
	v_mfma_i32_16x16x32_i8 v[196:199], a[122:123], v[154:155], v[196:199]// 00000001E558: D3D700C4 0F13357A
	v_mfma_i32_16x16x32_i8 v[196:199], a[124:125], v[156:157], v[196:199]// 00000001E560: D3D700C4 0F13397C
	v_mfma_i32_16x16x32_i8 v[196:199], a[126:127], v[158:159], v[196:199]// 00000001E568: D3D700C4 0F133D7E
	s_nop 4                                                    // 00000001E570: BF800004
	s_branch label_70DE                                        // 00000001E574: BF820000

000000000001e578 <label_70DE>:
	v_mul_f32_e32 v208, v49, v208                              // 00000001E578: 0BA1A131
	v_mul_f32_e32 v209, v49, v209                              // 00000001E57C: 0BA3A331
	v_mul_f32_e32 v210, v49, v210                              // 00000001E580: 0BA5A531
	v_mul_f32_e32 v211, v49, v211                              // 00000001E584: 0BA7A731
	v_mul_f32_e32 v212, v49, v212                              // 00000001E588: 0BA9A931
	v_mul_f32_e32 v213, v49, v213                              // 00000001E58C: 0BABAB31
	v_mul_f32_e32 v214, v49, v214                              // 00000001E590: 0BADAD31
	v_mul_f32_e32 v215, v49, v215                              // 00000001E594: 0BAFAF31
	v_cvt_f32_i32_e32 v176, v176                               // 00000001E598: 7F600BB0
	v_cvt_f32_i32_e32 v177, v177                               // 00000001E59C: 7F620BB1
	v_cvt_f32_i32_e32 v178, v178                               // 00000001E5A0: 7F640BB2
	v_cvt_f32_i32_e32 v179, v179                               // 00000001E5A4: 7F660BB3
	v_cvt_f32_i32_e32 v180, v180                               // 00000001E5A8: 7F680BB4
	v_cvt_f32_i32_e32 v181, v181                               // 00000001E5AC: 7F6A0BB5
	v_cvt_f32_i32_e32 v182, v182                               // 00000001E5B0: 7F6C0BB6
	v_cvt_f32_i32_e32 v183, v183                               // 00000001E5B4: 7F6E0BB7
	v_mul_f32_e32 v176, v44, v176                              // 00000001E5B8: 0B61612C
	v_mul_f32_e32 v177, v44, v177                              // 00000001E5BC: 0B63632C
	v_mul_f32_e32 v178, v44, v178                              // 00000001E5C0: 0B65652C
	v_mul_f32_e32 v179, v44, v179                              // 00000001E5C4: 0B67672C
	v_mul_f32_e32 v180, v44, v180                              // 00000001E5C8: 0B69692C
	v_mul_f32_e32 v181, v44, v181                              // 00000001E5CC: 0B6B6B2C
	v_mul_f32_e32 v182, v44, v182                              // 00000001E5D0: 0B6D6D2C
	v_mul_f32_e32 v183, v44, v183                              // 00000001E5D4: 0B6F6F2C
	v_add_f32_e32 v208, v208, v176                             // 00000001E5D8: 03A161D0
	v_add_f32_e32 v209, v209, v177                             // 00000001E5DC: 03A363D1
	v_add_f32_e32 v210, v210, v178                             // 00000001E5E0: 03A565D2
	v_add_f32_e32 v211, v211, v179                             // 00000001E5E4: 03A767D3
	v_add_f32_e32 v212, v212, v180                             // 00000001E5E8: 03A969D4
	v_add_f32_e32 v213, v213, v181                             // 00000001E5EC: 03AB6BD5
	v_add_f32_e32 v214, v214, v182                             // 00000001E5F0: 03AD6DD6
	v_add_f32_e32 v215, v215, v183                             // 00000001E5F4: 03AF6FD7
	ds_write_b32 v8, v38 offset:16896                          // 00000001E5F8: D81A4200 00002608
	s_waitcnt lgkmcnt(0)                                       // 00000001E600: BF8CC07F
	s_barrier                                                  // 00000001E604: BF8A0000
	ds_read_b32 v64, v7 offset:16896                           // 00000001E608: D86C4200 40000007
	ds_read_b32 v65, v7 offset:16960                           // 00000001E610: D86C4240 41000007
	ds_read_b32 v66, v7 offset:17024                           // 00000001E618: D86C4280 42000007
	ds_read_b32 v67, v7 offset:17088                           // 00000001E620: D86C42C0 43000007
	ds_read_b32 v68, v7 offset:17152                           // 00000001E628: D86C4300 44000007
	ds_read_b32 v69, v7 offset:17216                           // 00000001E630: D86C4340 45000007
	ds_read_b32 v70, v7 offset:17280                           // 00000001E638: D86C4380 46000007
	ds_read_b32 v71, v7 offset:17344                           // 00000001E640: D86C43C0 47000007
	ds_read_b32 v72, v7 offset:17408                           // 00000001E648: D86C4400 48000007
	ds_read_b32 v73, v7 offset:17472                           // 00000001E650: D86C4440 49000007
	ds_read_b32 v74, v7 offset:17536                           // 00000001E658: D86C4480 4A000007
	ds_read_b32 v75, v7 offset:17600                           // 00000001E660: D86C44C0 4B000007
	ds_read_b32 v76, v7 offset:17664                           // 00000001E668: D86C4500 4C000007
	ds_read_b32 v77, v7 offset:17728                           // 00000001E670: D86C4540 4D000007
	ds_read_b32 v78, v7 offset:17792                           // 00000001E678: D86C4580 4E000007
	ds_read_b32 v79, v7 offset:17856                           // 00000001E680: D86C45C0 4F000007
	s_waitcnt lgkmcnt(0)                                       // 00000001E688: BF8CC07F
	v_mov_b32_e32 v38, 0                                       // 00000001E68C: 7E4C0280
	v_add_f32_e32 v38, v64, v38                                // 00000001E690: 024C4D40
	v_add_f32_e32 v38, v65, v38                                // 00000001E694: 024C4D41
	v_add_f32_e32 v38, v66, v38                                // 00000001E698: 024C4D42
	v_add_f32_e32 v38, v67, v38                                // 00000001E69C: 024C4D43
	v_add_f32_e32 v38, v68, v38                                // 00000001E6A0: 024C4D44
	v_add_f32_e32 v38, v69, v38                                // 00000001E6A4: 024C4D45
	v_add_f32_e32 v38, v70, v38                                // 00000001E6A8: 024C4D46
	v_add_f32_e32 v38, v71, v38                                // 00000001E6AC: 024C4D47
	v_add_f32_e32 v38, v72, v38                                // 00000001E6B0: 024C4D48
	v_add_f32_e32 v38, v73, v38                                // 00000001E6B4: 024C4D49
	v_add_f32_e32 v38, v74, v38                                // 00000001E6B8: 024C4D4A
	v_add_f32_e32 v38, v75, v38                                // 00000001E6BC: 024C4D4B
	v_add_f32_e32 v38, v76, v38                                // 00000001E6C0: 024C4D4C
	v_add_f32_e32 v38, v77, v38                                // 00000001E6C4: 024C4D4D
	v_add_f32_e32 v38, v78, v38                                // 00000001E6C8: 024C4D4E
	v_add_f32_e32 v38, v79, v38                                // 00000001E6CC: 024C4D4F
	s_nop 1                                                    // 00000001E6D0: BF800001
	v_rcp_f32_e32 v38, v38                                     // 00000001E6D4: 7E4C4526
	s_nop 1                                                    // 00000001E6D8: BF800001
	v_mul_f32_e32 v208, v38, v208                              // 00000001E6DC: 0BA1A126
	v_mul_f32_e32 v209, v38, v209                              // 00000001E6E0: 0BA3A326
	v_mul_f32_e32 v210, v38, v210                              // 00000001E6E4: 0BA5A526
	v_mul_f32_e32 v211, v38, v211                              // 00000001E6E8: 0BA7A726
	v_mul_f32_e32 v212, v38, v212                              // 00000001E6EC: 0BA9A926
	v_mul_f32_e32 v213, v38, v213                              // 00000001E6F0: 0BABAB26
	v_mul_f32_e32 v214, v38, v214                              // 00000001E6F4: 0BADAD26
	v_mul_f32_e32 v215, v38, v215                              // 00000001E6F8: 0BAFAF26
	v_mov_b32_e32 v19, 0xffff0000                              // 00000001E6FC: 7E2602FF FFFF0000
	v_mov_b32_e32 v20, 0x7fff0000                              // 00000001E704: 7E2802FF 7FFF0000
	v_mov_b32_e32 v21, 0x7fff                                  // 00000001E70C: 7E2A02FF 00007FFF
	v_cmp_u_f32_e64 s[40:41], v208, v208                       // 00000001E714: D0480028 0003A1D0
	v_add3_u32 v18, v208, v21, 1                               // 00000001E71C: D1FF0012 02062BD0
	v_cndmask_b32_e64 v64, v18, v20, s[40:41]                  // 00000001E724: D1000040 00A22912
	v_cmp_u_f32_e64 s[40:41], v209, v209                       // 00000001E72C: D0480028 0003A3D1
	v_add3_u32 v18, v209, v21, 1                               // 00000001E734: D1FF0012 02062BD1
	v_cndmask_b32_e64 v65, v18, v20, s[40:41]                  // 00000001E73C: D1000041 00A22912
	v_perm_b32 v208, v65, v64, s52                             // 00000001E744: D1ED00D0 00D28141
	v_cmp_u_f32_e64 s[40:41], v210, v210                       // 00000001E74C: D0480028 0003A5D2
	v_add3_u32 v18, v210, v21, 1                               // 00000001E754: D1FF0012 02062BD2
	v_cndmask_b32_e64 v64, v18, v20, s[40:41]                  // 00000001E75C: D1000040 00A22912
	v_cmp_u_f32_e64 s[40:41], v211, v211                       // 00000001E764: D0480028 0003A7D3
	v_add3_u32 v18, v211, v21, 1                               // 00000001E76C: D1FF0012 02062BD3
	v_cndmask_b32_e64 v65, v18, v20, s[40:41]                  // 00000001E774: D1000041 00A22912
	v_perm_b32 v209, v65, v64, s52                             // 00000001E77C: D1ED00D1 00D28141
	v_cmp_u_f32_e64 s[40:41], v212, v212                       // 00000001E784: D0480028 0003A9D4
	v_add3_u32 v18, v212, v21, 1                               // 00000001E78C: D1FF0012 02062BD4
	v_cndmask_b32_e64 v64, v18, v20, s[40:41]                  // 00000001E794: D1000040 00A22912
	v_cmp_u_f32_e64 s[40:41], v213, v213                       // 00000001E79C: D0480028 0003ABD5
	v_add3_u32 v18, v213, v21, 1                               // 00000001E7A4: D1FF0012 02062BD5
	v_cndmask_b32_e64 v65, v18, v20, s[40:41]                  // 00000001E7AC: D1000041 00A22912
	v_perm_b32 v210, v65, v64, s52                             // 00000001E7B4: D1ED00D2 00D28141
	v_cmp_u_f32_e64 s[40:41], v214, v214                       // 00000001E7BC: D0480028 0003ADD6
	v_add3_u32 v18, v214, v21, 1                               // 00000001E7C4: D1FF0012 02062BD6
	v_cndmask_b32_e64 v64, v18, v20, s[40:41]                  // 00000001E7CC: D1000040 00A22912
	v_cmp_u_f32_e64 s[40:41], v215, v215                       // 00000001E7D4: D0480028 0003AFD7
	v_add3_u32 v18, v215, v21, 1                               // 00000001E7DC: D1FF0012 02062BD7
	v_cndmask_b32_e64 v65, v18, v20, s[40:41]                  // 00000001E7E4: D1000041 00A22912
	v_perm_b32 v211, v65, v64, s52                             // 00000001E7EC: D1ED00D3 00D28141
	s_nop 1                                                    // 00000001E7F4: BF800001
	v_lshrrev_b32_e32 v64, 4, v0                               // 00000001E7F8: 20800084
	v_mul_i32_i24_e32 v68, 34, v64                             // 00000001E7FC: 0C8880A2
	v_and_b32_e32 v64, 15, v0                                  // 00000001E800: 2680008F
	v_mul_i32_i24_e32 v65, 2, v64                              // 00000001E804: 0C828082
	v_add_u32_e32 v68, v65, v68                                // 00000001E808: 68888941
	s_mul_i32 s60, s7, 0x88                                    // 00000001E80C: 923CFF07 00000088
	v_add_u32_e32 v68, s60, v68                                // 00000001E814: 6888883C
	v_lshlrev_b32_e32 v68, 2, v68                              // 00000001E818: 24888882
	ds_write_b64 v68, v[208:209] offset:41472                  // 00000001E81C: D89AA200 0000D044
	ds_write_b64 v68, v[210:211] offset:43648                  // 00000001E824: D89AAA80 0000D244
	v_lshrrev_b32_e32 v64, 1, v0                               // 00000001E82C: 20800081
	v_mul_i32_i24_e32 v68, 34, v64                             // 00000001E830: 0C8880A2
	v_and_b32_e32 v65, 1, v0                                   // 00000001E834: 26820081
	v_add_u32_e32 v68, v65, v68                                // 00000001E838: 68888941
	s_mul_i32 s60, s7, 2                                       // 00000001E83C: 923C8207
	v_add_u32_e32 v68, s60, v68                                // 00000001E840: 6888883C
	v_lshlrev_b32_e32 v68, 2, v68                              // 00000001E844: 24888882
	s_waitcnt lgkmcnt(0)                                       // 00000001E848: BF8CC07F
	s_barrier                                                  // 00000001E84C: BF8A0000
	ds_read_b32 v208, v68 offset:41472                         // 00000001E850: D86CA200 D0000044
	ds_read_b32 v209, v68 offset:41504                         // 00000001E858: D86CA220 D1000044
	ds_read_b32 v210, v68 offset:41536                         // 00000001E860: D86CA240 D2000044
	ds_read_b32 v211, v68 offset:41568                         // 00000001E868: D86CA260 D3000044
	s_mul_i32 s60, s7, 0x100                                   // 00000001E870: 923CFF07 00000100
	v_lshlrev_b32_e32 v64, 2, v0                               // 00000001E878: 24800082
	v_add_u32_e64 v64, v64, s60                                // 00000001E87C: D1340040 00007940
	s_waitcnt lgkmcnt(0)                                       // 00000001E884: BF8CC07F
	buffer_store_dword v208, v64, s[8:11], 0 offen             // 00000001E888: E0701000 8002D040
	buffer_store_dword v209, v64, s[8:11], 0 offen offset:1024 // 00000001E890: E0701400 8002D140
	buffer_store_dword v210, v64, s[8:11], 0 offen offset:2048 // 00000001E898: E0701800 8002D240
	buffer_store_dword v211, v64, s[8:11], 0 offen offset:3072 // 00000001E8A0: E0701C00 8002D340
	s_add_u32 s8, s75, s8                                      // 00000001E8A8: 8008084B
	s_addc_u32 s9, 0, s9                                       // 00000001E8AC: 82090980
	v_mul_f32_e32 v216, v50, v216                              // 00000001E8B0: 0BB1B132
	v_mul_f32_e32 v217, v50, v217                              // 00000001E8B4: 0BB3B332
	v_mul_f32_e32 v218, v50, v218                              // 00000001E8B8: 0BB5B532
	v_mul_f32_e32 v219, v50, v219                              // 00000001E8BC: 0BB7B732
	v_mul_f32_e32 v220, v50, v220                              // 00000001E8C0: 0BB9B932
	v_mul_f32_e32 v221, v50, v221                              // 00000001E8C4: 0BBBBB32
	v_mul_f32_e32 v222, v50, v222                              // 00000001E8C8: 0BBDBD32
	v_mul_f32_e32 v223, v50, v223                              // 00000001E8CC: 0BBFBF32
	v_cvt_f32_i32_e32 v184, v184                               // 00000001E8D0: 7F700BB8
	v_cvt_f32_i32_e32 v185, v185                               // 00000001E8D4: 7F720BB9
	v_cvt_f32_i32_e32 v186, v186                               // 00000001E8D8: 7F740BBA
	v_cvt_f32_i32_e32 v187, v187                               // 00000001E8DC: 7F760BBB
	v_cvt_f32_i32_e32 v188, v188                               // 00000001E8E0: 7F780BBC
	v_cvt_f32_i32_e32 v189, v189                               // 00000001E8E4: 7F7A0BBD
	v_cvt_f32_i32_e32 v190, v190                               // 00000001E8E8: 7F7C0BBE
	v_cvt_f32_i32_e32 v191, v191                               // 00000001E8EC: 7F7E0BBF
	v_mul_f32_e32 v184, v45, v184                              // 00000001E8F0: 0B71712D
	v_mul_f32_e32 v185, v45, v185                              // 00000001E8F4: 0B73732D
	v_mul_f32_e32 v186, v45, v186                              // 00000001E8F8: 0B75752D
	v_mul_f32_e32 v187, v45, v187                              // 00000001E8FC: 0B77772D
	v_mul_f32_e32 v188, v45, v188                              // 00000001E900: 0B79792D
	v_mul_f32_e32 v189, v45, v189                              // 00000001E904: 0B7B7B2D
	v_mul_f32_e32 v190, v45, v190                              // 00000001E908: 0B7D7D2D
	v_mul_f32_e32 v191, v45, v191                              // 00000001E90C: 0B7F7F2D
	v_add_f32_e32 v216, v216, v184                             // 00000001E910: 03B171D8
	v_add_f32_e32 v217, v217, v185                             // 00000001E914: 03B373D9
	v_add_f32_e32 v218, v218, v186                             // 00000001E918: 03B575DA
	v_add_f32_e32 v219, v219, v187                             // 00000001E91C: 03B777DB
	v_add_f32_e32 v220, v220, v188                             // 00000001E920: 03B979DC
	v_add_f32_e32 v221, v221, v189                             // 00000001E924: 03BB7BDD
	v_add_f32_e32 v222, v222, v190                             // 00000001E928: 03BD7DDE
	v_add_f32_e32 v223, v223, v191                             // 00000001E92C: 03BF7FDF
	ds_write_b32 v8, v39 offset:16896                          // 00000001E930: D81A4200 00002708
	s_waitcnt lgkmcnt(0)                                       // 00000001E938: BF8CC07F
	s_barrier                                                  // 00000001E93C: BF8A0000
	ds_read_b32 v64, v7 offset:16896                           // 00000001E940: D86C4200 40000007
	ds_read_b32 v65, v7 offset:16960                           // 00000001E948: D86C4240 41000007
	ds_read_b32 v66, v7 offset:17024                           // 00000001E950: D86C4280 42000007
	ds_read_b32 v67, v7 offset:17088                           // 00000001E958: D86C42C0 43000007
	ds_read_b32 v68, v7 offset:17152                           // 00000001E960: D86C4300 44000007
	ds_read_b32 v69, v7 offset:17216                           // 00000001E968: D86C4340 45000007
	ds_read_b32 v70, v7 offset:17280                           // 00000001E970: D86C4380 46000007
	ds_read_b32 v71, v7 offset:17344                           // 00000001E978: D86C43C0 47000007
	ds_read_b32 v72, v7 offset:17408                           // 00000001E980: D86C4400 48000007
	ds_read_b32 v73, v7 offset:17472                           // 00000001E988: D86C4440 49000007
	ds_read_b32 v74, v7 offset:17536                           // 00000001E990: D86C4480 4A000007
	ds_read_b32 v75, v7 offset:17600                           // 00000001E998: D86C44C0 4B000007
	ds_read_b32 v76, v7 offset:17664                           // 00000001E9A0: D86C4500 4C000007
	ds_read_b32 v77, v7 offset:17728                           // 00000001E9A8: D86C4540 4D000007
	ds_read_b32 v78, v7 offset:17792                           // 00000001E9B0: D86C4580 4E000007
	ds_read_b32 v79, v7 offset:17856                           // 00000001E9B8: D86C45C0 4F000007
	s_waitcnt lgkmcnt(0)                                       // 00000001E9C0: BF8CC07F
	v_mov_b32_e32 v39, 0                                       // 00000001E9C4: 7E4E0280
	v_add_f32_e32 v39, v64, v39                                // 00000001E9C8: 024E4F40
	v_add_f32_e32 v39, v65, v39                                // 00000001E9CC: 024E4F41
	v_add_f32_e32 v39, v66, v39                                // 00000001E9D0: 024E4F42
	v_add_f32_e32 v39, v67, v39                                // 00000001E9D4: 024E4F43
	v_add_f32_e32 v39, v68, v39                                // 00000001E9D8: 024E4F44
	v_add_f32_e32 v39, v69, v39                                // 00000001E9DC: 024E4F45
	v_add_f32_e32 v39, v70, v39                                // 00000001E9E0: 024E4F46
	v_add_f32_e32 v39, v71, v39                                // 00000001E9E4: 024E4F47
	v_add_f32_e32 v39, v72, v39                                // 00000001E9E8: 024E4F48
	v_add_f32_e32 v39, v73, v39                                // 00000001E9EC: 024E4F49
	v_add_f32_e32 v39, v74, v39                                // 00000001E9F0: 024E4F4A
	v_add_f32_e32 v39, v75, v39                                // 00000001E9F4: 024E4F4B
	v_add_f32_e32 v39, v76, v39                                // 00000001E9F8: 024E4F4C
	v_add_f32_e32 v39, v77, v39                                // 00000001E9FC: 024E4F4D
	v_add_f32_e32 v39, v78, v39                                // 00000001EA00: 024E4F4E
	v_add_f32_e32 v39, v79, v39                                // 00000001EA04: 024E4F4F
	s_nop 1                                                    // 00000001EA08: BF800001
	v_rcp_f32_e32 v39, v39                                     // 00000001EA0C: 7E4E4527
	s_nop 1                                                    // 00000001EA10: BF800001
	v_mul_f32_e32 v216, v39, v216                              // 00000001EA14: 0BB1B127
	v_mul_f32_e32 v217, v39, v217                              // 00000001EA18: 0BB3B327
	v_mul_f32_e32 v218, v39, v218                              // 00000001EA1C: 0BB5B527
	v_mul_f32_e32 v219, v39, v219                              // 00000001EA20: 0BB7B727
	v_mul_f32_e32 v220, v39, v220                              // 00000001EA24: 0BB9B927
	v_mul_f32_e32 v221, v39, v221                              // 00000001EA28: 0BBBBB27
	v_mul_f32_e32 v222, v39, v222                              // 00000001EA2C: 0BBDBD27
	v_mul_f32_e32 v223, v39, v223                              // 00000001EA30: 0BBFBF27
	v_mov_b32_e32 v19, 0xffff0000                              // 00000001EA34: 7E2602FF FFFF0000
	v_mov_b32_e32 v20, 0x7fff0000                              // 00000001EA3C: 7E2802FF 7FFF0000
	v_mov_b32_e32 v21, 0x7fff                                  // 00000001EA44: 7E2A02FF 00007FFF
	v_cmp_u_f32_e64 s[40:41], v216, v216                       // 00000001EA4C: D0480028 0003B1D8
	v_add3_u32 v18, v216, v21, 1                               // 00000001EA54: D1FF0012 02062BD8
	v_cndmask_b32_e64 v64, v18, v20, s[40:41]                  // 00000001EA5C: D1000040 00A22912
	v_cmp_u_f32_e64 s[40:41], v217, v217                       // 00000001EA64: D0480028 0003B3D9
	v_add3_u32 v18, v217, v21, 1                               // 00000001EA6C: D1FF0012 02062BD9
	v_cndmask_b32_e64 v65, v18, v20, s[40:41]                  // 00000001EA74: D1000041 00A22912
	v_perm_b32 v216, v65, v64, s52                             // 00000001EA7C: D1ED00D8 00D28141
	v_cmp_u_f32_e64 s[40:41], v218, v218                       // 00000001EA84: D0480028 0003B5DA
	v_add3_u32 v18, v218, v21, 1                               // 00000001EA8C: D1FF0012 02062BDA
	v_cndmask_b32_e64 v64, v18, v20, s[40:41]                  // 00000001EA94: D1000040 00A22912
	v_cmp_u_f32_e64 s[40:41], v219, v219                       // 00000001EA9C: D0480028 0003B7DB
	v_add3_u32 v18, v219, v21, 1                               // 00000001EAA4: D1FF0012 02062BDB
	v_cndmask_b32_e64 v65, v18, v20, s[40:41]                  // 00000001EAAC: D1000041 00A22912
	v_perm_b32 v217, v65, v64, s52                             // 00000001EAB4: D1ED00D9 00D28141
	v_cmp_u_f32_e64 s[40:41], v220, v220                       // 00000001EABC: D0480028 0003B9DC
	v_add3_u32 v18, v220, v21, 1                               // 00000001EAC4: D1FF0012 02062BDC
	v_cndmask_b32_e64 v64, v18, v20, s[40:41]                  // 00000001EACC: D1000040 00A22912
	v_cmp_u_f32_e64 s[40:41], v221, v221                       // 00000001EAD4: D0480028 0003BBDD
	v_add3_u32 v18, v221, v21, 1                               // 00000001EADC: D1FF0012 02062BDD
	v_cndmask_b32_e64 v65, v18, v20, s[40:41]                  // 00000001EAE4: D1000041 00A22912
	v_perm_b32 v218, v65, v64, s52                             // 00000001EAEC: D1ED00DA 00D28141
	v_cmp_u_f32_e64 s[40:41], v222, v222                       // 00000001EAF4: D0480028 0003BDDE
	v_add3_u32 v18, v222, v21, 1                               // 00000001EAFC: D1FF0012 02062BDE
	v_cndmask_b32_e64 v64, v18, v20, s[40:41]                  // 00000001EB04: D1000040 00A22912
	v_cmp_u_f32_e64 s[40:41], v223, v223                       // 00000001EB0C: D0480028 0003BFDF
	v_add3_u32 v18, v223, v21, 1                               // 00000001EB14: D1FF0012 02062BDF
	v_cndmask_b32_e64 v65, v18, v20, s[40:41]                  // 00000001EB1C: D1000041 00A22912
	v_perm_b32 v219, v65, v64, s52                             // 00000001EB24: D1ED00DB 00D28141
	s_nop 1                                                    // 00000001EB2C: BF800001
	v_lshrrev_b32_e32 v64, 4, v0                               // 00000001EB30: 20800084
	v_mul_i32_i24_e32 v68, 34, v64                             // 00000001EB34: 0C8880A2
	v_and_b32_e32 v64, 15, v0                                  // 00000001EB38: 2680008F
	v_mul_i32_i24_e32 v65, 2, v64                              // 00000001EB3C: 0C828082
	v_add_u32_e32 v68, v65, v68                                // 00000001EB40: 68888941
	s_mul_i32 s60, s7, 0x88                                    // 00000001EB44: 923CFF07 00000088
	v_add_u32_e32 v68, s60, v68                                // 00000001EB4C: 6888883C
	v_lshlrev_b32_e32 v68, 2, v68                              // 00000001EB50: 24888882
	ds_write_b64 v68, v[216:217] offset:41472                  // 00000001EB54: D89AA200 0000D844
	ds_write_b64 v68, v[218:219] offset:43648                  // 00000001EB5C: D89AAA80 0000DA44
	v_lshrrev_b32_e32 v64, 1, v0                               // 00000001EB64: 20800081
	v_mul_i32_i24_e32 v68, 34, v64                             // 00000001EB68: 0C8880A2
	v_and_b32_e32 v65, 1, v0                                   // 00000001EB6C: 26820081
	v_add_u32_e32 v68, v65, v68                                // 00000001EB70: 68888941
	s_mul_i32 s60, s7, 2                                       // 00000001EB74: 923C8207
	v_add_u32_e32 v68, s60, v68                                // 00000001EB78: 6888883C
	v_lshlrev_b32_e32 v68, 2, v68                              // 00000001EB7C: 24888882
	s_waitcnt lgkmcnt(0)                                       // 00000001EB80: BF8CC07F
	s_barrier                                                  // 00000001EB84: BF8A0000
	ds_read_b32 v216, v68 offset:41472                         // 00000001EB88: D86CA200 D8000044
	ds_read_b32 v217, v68 offset:41504                         // 00000001EB90: D86CA220 D9000044
	ds_read_b32 v218, v68 offset:41536                         // 00000001EB98: D86CA240 DA000044
	ds_read_b32 v219, v68 offset:41568                         // 00000001EBA0: D86CA260 DB000044
	s_mul_i32 s60, s7, 0x100                                   // 00000001EBA8: 923CFF07 00000100
	v_lshlrev_b32_e32 v64, 2, v0                               // 00000001EBB0: 24800082
	v_add_u32_e64 v64, v64, s60                                // 00000001EBB4: D1340040 00007940
	s_waitcnt lgkmcnt(0)                                       // 00000001EBBC: BF8CC07F
	buffer_store_dword v216, v64, s[8:11], 0 offen             // 00000001EBC0: E0701000 8002D840
	buffer_store_dword v217, v64, s[8:11], 0 offen offset:1024 // 00000001EBC8: E0701400 8002D940
	buffer_store_dword v218, v64, s[8:11], 0 offen offset:2048 // 00000001EBD0: E0701800 8002DA40
	buffer_store_dword v219, v64, s[8:11], 0 offen offset:3072 // 00000001EBD8: E0701C00 8002DB40
	s_add_u32 s8, s75, s8                                      // 00000001EBE0: 8008084B
	s_addc_u32 s9, 0, s9                                       // 00000001EBE4: 82090980
	v_mul_f32_e32 v224, v51, v224                              // 00000001EBE8: 0BC1C133
	v_mul_f32_e32 v225, v51, v225                              // 00000001EBEC: 0BC3C333
	v_mul_f32_e32 v226, v51, v226                              // 00000001EBF0: 0BC5C533
	v_mul_f32_e32 v227, v51, v227                              // 00000001EBF4: 0BC7C733
	v_mul_f32_e32 v228, v51, v228                              // 00000001EBF8: 0BC9C933
	v_mul_f32_e32 v229, v51, v229                              // 00000001EBFC: 0BCBCB33
	v_mul_f32_e32 v230, v51, v230                              // 00000001EC00: 0BCDCD33
	v_mul_f32_e32 v231, v51, v231                              // 00000001EC04: 0BCFCF33
	v_cvt_f32_i32_e32 v192, v192                               // 00000001EC08: 7F800BC0
	v_cvt_f32_i32_e32 v193, v193                               // 00000001EC0C: 7F820BC1
	v_cvt_f32_i32_e32 v194, v194                               // 00000001EC10: 7F840BC2
	v_cvt_f32_i32_e32 v195, v195                               // 00000001EC14: 7F860BC3
	v_cvt_f32_i32_e32 v196, v196                               // 00000001EC18: 7F880BC4
	v_cvt_f32_i32_e32 v197, v197                               // 00000001EC1C: 7F8A0BC5
	v_cvt_f32_i32_e32 v198, v198                               // 00000001EC20: 7F8C0BC6
	v_cvt_f32_i32_e32 v199, v199                               // 00000001EC24: 7F8E0BC7
	v_mul_f32_e32 v192, v46, v192                              // 00000001EC28: 0B81812E
	v_mul_f32_e32 v193, v46, v193                              // 00000001EC2C: 0B83832E
	v_mul_f32_e32 v194, v46, v194                              // 00000001EC30: 0B85852E
	v_mul_f32_e32 v195, v46, v195                              // 00000001EC34: 0B87872E
	v_mul_f32_e32 v196, v46, v196                              // 00000001EC38: 0B89892E
	v_mul_f32_e32 v197, v46, v197                              // 00000001EC3C: 0B8B8B2E
	v_mul_f32_e32 v198, v46, v198                              // 00000001EC40: 0B8D8D2E
	v_mul_f32_e32 v199, v46, v199                              // 00000001EC44: 0B8F8F2E
	v_add_f32_e32 v224, v224, v192                             // 00000001EC48: 03C181E0
	v_add_f32_e32 v225, v225, v193                             // 00000001EC4C: 03C383E1
	v_add_f32_e32 v226, v226, v194                             // 00000001EC50: 03C585E2
	v_add_f32_e32 v227, v227, v195                             // 00000001EC54: 03C787E3
	v_add_f32_e32 v228, v228, v196                             // 00000001EC58: 03C989E4
	v_add_f32_e32 v229, v229, v197                             // 00000001EC5C: 03CB8BE5
	v_add_f32_e32 v230, v230, v198                             // 00000001EC60: 03CD8DE6
	v_add_f32_e32 v231, v231, v199                             // 00000001EC64: 03CF8FE7
	ds_write_b32 v8, v40 offset:16896                          // 00000001EC68: D81A4200 00002808
	s_waitcnt lgkmcnt(0)                                       // 00000001EC70: BF8CC07F
	s_barrier                                                  // 00000001EC74: BF8A0000
	ds_read_b32 v64, v7 offset:16896                           // 00000001EC78: D86C4200 40000007
	ds_read_b32 v65, v7 offset:16960                           // 00000001EC80: D86C4240 41000007
	ds_read_b32 v66, v7 offset:17024                           // 00000001EC88: D86C4280 42000007
	ds_read_b32 v67, v7 offset:17088                           // 00000001EC90: D86C42C0 43000007
	ds_read_b32 v68, v7 offset:17152                           // 00000001EC98: D86C4300 44000007
	ds_read_b32 v69, v7 offset:17216                           // 00000001ECA0: D86C4340 45000007
	ds_read_b32 v70, v7 offset:17280                           // 00000001ECA8: D86C4380 46000007
	ds_read_b32 v71, v7 offset:17344                           // 00000001ECB0: D86C43C0 47000007
	ds_read_b32 v72, v7 offset:17408                           // 00000001ECB8: D86C4400 48000007
	ds_read_b32 v73, v7 offset:17472                           // 00000001ECC0: D86C4440 49000007
	ds_read_b32 v74, v7 offset:17536                           // 00000001ECC8: D86C4480 4A000007
	ds_read_b32 v75, v7 offset:17600                           // 00000001ECD0: D86C44C0 4B000007
	ds_read_b32 v76, v7 offset:17664                           // 00000001ECD8: D86C4500 4C000007
	ds_read_b32 v77, v7 offset:17728                           // 00000001ECE0: D86C4540 4D000007
	ds_read_b32 v78, v7 offset:17792                           // 00000001ECE8: D86C4580 4E000007
	ds_read_b32 v79, v7 offset:17856                           // 00000001ECF0: D86C45C0 4F000007
	s_waitcnt lgkmcnt(0)                                       // 00000001ECF8: BF8CC07F
	v_mov_b32_e32 v40, 0                                       // 00000001ECFC: 7E500280
	v_add_f32_e32 v40, v64, v40                                // 00000001ED00: 02505140
	v_add_f32_e32 v40, v65, v40                                // 00000001ED04: 02505141
	v_add_f32_e32 v40, v66, v40                                // 00000001ED08: 02505142
	v_add_f32_e32 v40, v67, v40                                // 00000001ED0C: 02505143
	v_add_f32_e32 v40, v68, v40                                // 00000001ED10: 02505144
	v_add_f32_e32 v40, v69, v40                                // 00000001ED14: 02505145
	v_add_f32_e32 v40, v70, v40                                // 00000001ED18: 02505146
	v_add_f32_e32 v40, v71, v40                                // 00000001ED1C: 02505147
	v_add_f32_e32 v40, v72, v40                                // 00000001ED20: 02505148
	v_add_f32_e32 v40, v73, v40                                // 00000001ED24: 02505149
	v_add_f32_e32 v40, v74, v40                                // 00000001ED28: 0250514A
	v_add_f32_e32 v40, v75, v40                                // 00000001ED2C: 0250514B
	v_add_f32_e32 v40, v76, v40                                // 00000001ED30: 0250514C
	v_add_f32_e32 v40, v77, v40                                // 00000001ED34: 0250514D
	v_add_f32_e32 v40, v78, v40                                // 00000001ED38: 0250514E
	v_add_f32_e32 v40, v79, v40                                // 00000001ED3C: 0250514F
	s_nop 1                                                    // 00000001ED40: BF800001
	v_rcp_f32_e32 v40, v40                                     // 00000001ED44: 7E504528
	s_nop 1                                                    // 00000001ED48: BF800001
	v_mul_f32_e32 v224, v40, v224                              // 00000001ED4C: 0BC1C128
	v_mul_f32_e32 v225, v40, v225                              // 00000001ED50: 0BC3C328
	v_mul_f32_e32 v226, v40, v226                              // 00000001ED54: 0BC5C528
	v_mul_f32_e32 v227, v40, v227                              // 00000001ED58: 0BC7C728
	v_mul_f32_e32 v228, v40, v228                              // 00000001ED5C: 0BC9C928
	v_mul_f32_e32 v229, v40, v229                              // 00000001ED60: 0BCBCB28
	v_mul_f32_e32 v230, v40, v230                              // 00000001ED64: 0BCDCD28
	v_mul_f32_e32 v231, v40, v231                              // 00000001ED68: 0BCFCF28
	v_mov_b32_e32 v19, 0xffff0000                              // 00000001ED6C: 7E2602FF FFFF0000
	v_mov_b32_e32 v20, 0x7fff0000                              // 00000001ED74: 7E2802FF 7FFF0000
	v_mov_b32_e32 v21, 0x7fff                                  // 00000001ED7C: 7E2A02FF 00007FFF
	v_cmp_u_f32_e64 s[40:41], v224, v224                       // 00000001ED84: D0480028 0003C1E0
	v_add3_u32 v18, v224, v21, 1                               // 00000001ED8C: D1FF0012 02062BE0
	v_cndmask_b32_e64 v64, v18, v20, s[40:41]                  // 00000001ED94: D1000040 00A22912
	v_cmp_u_f32_e64 s[40:41], v225, v225                       // 00000001ED9C: D0480028 0003C3E1
	v_add3_u32 v18, v225, v21, 1                               // 00000001EDA4: D1FF0012 02062BE1
	v_cndmask_b32_e64 v65, v18, v20, s[40:41]                  // 00000001EDAC: D1000041 00A22912
	v_perm_b32 v224, v65, v64, s52                             // 00000001EDB4: D1ED00E0 00D28141
	v_cmp_u_f32_e64 s[40:41], v226, v226                       // 00000001EDBC: D0480028 0003C5E2
	v_add3_u32 v18, v226, v21, 1                               // 00000001EDC4: D1FF0012 02062BE2
	v_cndmask_b32_e64 v64, v18, v20, s[40:41]                  // 00000001EDCC: D1000040 00A22912
	v_cmp_u_f32_e64 s[40:41], v227, v227                       // 00000001EDD4: D0480028 0003C7E3
	v_add3_u32 v18, v227, v21, 1                               // 00000001EDDC: D1FF0012 02062BE3
	v_cndmask_b32_e64 v65, v18, v20, s[40:41]                  // 00000001EDE4: D1000041 00A22912
	v_perm_b32 v225, v65, v64, s52                             // 00000001EDEC: D1ED00E1 00D28141
	v_cmp_u_f32_e64 s[40:41], v228, v228                       // 00000001EDF4: D0480028 0003C9E4
	v_add3_u32 v18, v228, v21, 1                               // 00000001EDFC: D1FF0012 02062BE4
	v_cndmask_b32_e64 v64, v18, v20, s[40:41]                  // 00000001EE04: D1000040 00A22912
	v_cmp_u_f32_e64 s[40:41], v229, v229                       // 00000001EE0C: D0480028 0003CBE5
	v_add3_u32 v18, v229, v21, 1                               // 00000001EE14: D1FF0012 02062BE5
	v_cndmask_b32_e64 v65, v18, v20, s[40:41]                  // 00000001EE1C: D1000041 00A22912
	v_perm_b32 v226, v65, v64, s52                             // 00000001EE24: D1ED00E2 00D28141
	v_cmp_u_f32_e64 s[40:41], v230, v230                       // 00000001EE2C: D0480028 0003CDE6
	v_add3_u32 v18, v230, v21, 1                               // 00000001EE34: D1FF0012 02062BE6
	v_cndmask_b32_e64 v64, v18, v20, s[40:41]                  // 00000001EE3C: D1000040 00A22912
	v_cmp_u_f32_e64 s[40:41], v231, v231                       // 00000001EE44: D0480028 0003CFE7
	v_add3_u32 v18, v231, v21, 1                               // 00000001EE4C: D1FF0012 02062BE7
	v_cndmask_b32_e64 v65, v18, v20, s[40:41]                  // 00000001EE54: D1000041 00A22912
	v_perm_b32 v227, v65, v64, s52                             // 00000001EE5C: D1ED00E3 00D28141
	s_nop 1                                                    // 00000001EE64: BF800001
	v_lshrrev_b32_e32 v64, 4, v0                               // 00000001EE68: 20800084
	v_mul_i32_i24_e32 v68, 34, v64                             // 00000001EE6C: 0C8880A2
	v_and_b32_e32 v64, 15, v0                                  // 00000001EE70: 2680008F
	v_mul_i32_i24_e32 v65, 2, v64                              // 00000001EE74: 0C828082
	v_add_u32_e32 v68, v65, v68                                // 00000001EE78: 68888941
	s_mul_i32 s60, s7, 0x88                                    // 00000001EE7C: 923CFF07 00000088
	v_add_u32_e32 v68, s60, v68                                // 00000001EE84: 6888883C
	v_lshlrev_b32_e32 v68, 2, v68                              // 00000001EE88: 24888882
	ds_write_b64 v68, v[224:225] offset:41472                  // 00000001EE8C: D89AA200 0000E044
	ds_write_b64 v68, v[226:227] offset:43648                  // 00000001EE94: D89AAA80 0000E244
	v_lshrrev_b32_e32 v64, 1, v0                               // 00000001EE9C: 20800081
	v_mul_i32_i24_e32 v68, 34, v64                             // 00000001EEA0: 0C8880A2
	v_and_b32_e32 v65, 1, v0                                   // 00000001EEA4: 26820081
	v_add_u32_e32 v68, v65, v68                                // 00000001EEA8: 68888941
	s_mul_i32 s60, s7, 2                                       // 00000001EEAC: 923C8207
	v_add_u32_e32 v68, s60, v68                                // 00000001EEB0: 6888883C
	v_lshlrev_b32_e32 v68, 2, v68                              // 00000001EEB4: 24888882
	s_waitcnt lgkmcnt(0)                                       // 00000001EEB8: BF8CC07F
	s_barrier                                                  // 00000001EEBC: BF8A0000
	ds_read_b32 v224, v68 offset:41472                         // 00000001EEC0: D86CA200 E0000044
	ds_read_b32 v225, v68 offset:41504                         // 00000001EEC8: D86CA220 E1000044
	ds_read_b32 v226, v68 offset:41536                         // 00000001EED0: D86CA240 E2000044
	ds_read_b32 v227, v68 offset:41568                         // 00000001EED8: D86CA260 E3000044
	s_mul_i32 s60, s7, 0x100                                   // 00000001EEE0: 923CFF07 00000100
	v_lshlrev_b32_e32 v64, 2, v0                               // 00000001EEE8: 24800082
	v_add_u32_e64 v64, v64, s60                                // 00000001EEEC: D1340040 00007940
	s_waitcnt lgkmcnt(0)                                       // 00000001EEF4: BF8CC07F
	buffer_store_dword v224, v64, s[8:11], 0 offen             // 00000001EEF8: E0701000 8002E040
	buffer_store_dword v225, v64, s[8:11], 0 offen offset:1024 // 00000001EF00: E0701400 8002E140
	buffer_store_dword v226, v64, s[8:11], 0 offen offset:2048 // 00000001EF08: E0701800 8002E240
	buffer_store_dword v227, v64, s[8:11], 0 offen offset:3072 // 00000001EF10: E0701C00 8002E340
	s_add_u32 s8, s75, s8                                      // 00000001EF18: 8008084B
	s_addc_u32 s9, 0, s9                                       // 00000001EF1C: 82090980

000000000001ef20 <label_7348>:
	s_branch label_BD5B                                        // 00000001EF20: BF824A12

000000000001ef24 <label_7349>:
	s_mul_i32 s60, s3, s65                                     // 00000001EF24: 923C4103
	s_mul_i32 s60, s60, 4                                      // 00000001EF28: 923C843C
	s_add_u32 s24, s60, s24                                    // 00000001EF2C: 8018183C
	s_addc_u32 s25, 0, s25                                     // 00000001EF30: 82191980
	s_mov_b32 s56, 64                                          // 00000001EF34: BEB800C0
	s_add_u32 s73, s72, 15                                     // 00000001EF38: 80498F48
	s_lshr_b32 s73, s73, 4                                     // 00000001EF3C: 8F498449
	s_mul_i32 s60, s73, 4                                      // 00000001EF40: 923C8449
	s_mov_b32 s26, s60                                         // 00000001EF44: BE9A003C
	s_sub_u32 s89, s72, s86                                    // 00000001EF48: 80D95648
	s_mov_b32 s90, 0xff                                        // 00000001EF4C: BEDA00FF 000000FF
	s_mov_b32 s91, 0x100                                       // 00000001EF54: BEDB00FF 00000100
	v_and_b32_e32 v65, 3, v0                                   // 00000001EF5C: 26820083
	v_cmp_eq_u32_e64 s[60:61], 0, v65                          // 00000001EF60: D0CA003C 00028280
	v_and_b32_e32 v64, 12, v0                                  // 00000001EF68: 2680008C
	v_add_u32_e32 v1, s7, v64                                  // 00000001EF6C: 68028007
	v_cndmask_b32_e64 v1, 0, v1, s[60:61]                      // 00000001EF70: D1000001 00F20280
	v_and_b32_e32 v65, 3, v0                                   // 00000001EF78: 26820083
	v_cmp_eq_u32_e64 s[60:61], 1, v65                          // 00000001EF7C: D0CA003C 00028281
	v_lshrrev_b32_e32 v64, 4, v0                               // 00000001EF84: 20800084
	v_and_b32_e32 v65, 12, v0                                  // 00000001EF88: 2682008C
	v_add_u32_e32 v64, v65, v64                                // 00000001EF8C: 68808141
	v_cndmask_b32_e64 v64, 0, v64, s[60:61]                    // 00000001EF90: D1000040 00F28080
	v_add_u32_e32 v1, v1, v64                                  // 00000001EF98: 68028101
	v_lshlrev_b32_e32 v1, 2, v1                                // 00000001EF9C: 24020282
	buffer_load_dword v16, v1, s[24:27], 0 offen               // 00000001EFA0: E0501000 80061001
	v_add_u32_e32 v1, s56, v1                                  // 00000001EFA8: 68020238
	buffer_load_dword v17, v1, s[24:27], 0 offen               // 00000001EFAC: E0501000 80061101
	s_cmp_le_u32 s73, 32                                       // 00000001EFB4: BF0BA049
	s_cselect_b32 s56, 0, s56                                  // 00000001EFB8: 85383880
	s_mul_i32 s60, s2, s67                                     // 00000001EFBC: 923C4302
	s_mul_i32 s61, s84, s74                                    // 00000001EFC0: 923D4A54
	s_add_u32 s60, s60, s61                                    // 00000001EFC4: 803C3D3C
	s_add_u32 s12, s60, s12                                    // 00000001EFC8: 800C0C3C
	s_addc_u32 s13, 0, s13                                     // 00000001EFCC: 820D0D80
	s_mul_i32 s60, s7, 0x108                                   // 00000001EFD0: 923CFF07 00000108
	s_add_u32 m0, 0, s60                                       // 00000001EFD8: 807C3C80
	s_mul_i32 s60, s7, 0x100                                   // 00000001EFDC: 923CFF07 00000100
	v_lshlrev_b32_e32 v64, 2, v0                               // 00000001EFE4: 24800082
	v_add_u32_e64 v64, v64, s60                                // 00000001EFE8: D1340040 00007940
	v_add_u32_e32 v65, 0x400, v64                              // 00000001EFF0: 688280FF 00000400
	v_add_u32_e32 v66, 0x800, v64                              // 00000001EFF8: 688480FF 00000800
	v_add_u32_e32 v67, 0xc00, v64                              // 00000001F000: 688680FF 00000C00
	buffer_load_dword v64, s[12:15], 0 offen lds               // 00000001F008: E0511000 80030040
	s_mul_i32 s60, 4, 0x108                                    // 00000001F010: 923CFF84 00000108
	s_add_u32 m0, m0, s60                                      // 00000001F018: 807C3C7C
	buffer_load_dword v65, s[12:15], 0 offen lds               // 00000001F01C: E0511000 80030041
	s_mul_i32 s60, 4, 0x108                                    // 00000001F024: 923CFF84 00000108
	s_add_u32 m0, m0, s60                                      // 00000001F02C: 807C3C7C
	buffer_load_dword v66, s[12:15], 0 offen lds               // 00000001F030: E0511000 80030042
	s_mul_i32 s60, 4, 0x108                                    // 00000001F038: 923CFF84 00000108
	s_add_u32 m0, m0, s60                                      // 00000001F040: 807C3C7C
	buffer_load_dword v67, s[12:15], 0 offen lds               // 00000001F044: E0511000 80030043
	s_mul_i32 s60, 4, 0x108                                    // 00000001F04C: 923CFF84 00000108
	s_add_u32 m0, m0, s60                                      // 00000001F054: 807C3C7C
	s_add_u32 s12, s74, s12                                    // 00000001F058: 800C0C4A
	s_addc_u32 s13, 0, s13                                     // 00000001F05C: 820D0D80
	buffer_load_dword v64, s[12:15], 0 offen lds               // 00000001F060: E0511000 80030040
	s_mul_i32 s60, 4, 0x108                                    // 00000001F068: 923CFF84 00000108
	s_add_u32 m0, m0, s60                                      // 00000001F070: 807C3C7C
	buffer_load_dword v65, s[12:15], 0 offen lds               // 00000001F074: E0511000 80030041
	s_mul_i32 s60, 4, 0x108                                    // 00000001F07C: 923CFF84 00000108
	s_add_u32 m0, m0, s60                                      // 00000001F084: 807C3C7C
	buffer_load_dword v66, s[12:15], 0 offen lds               // 00000001F088: E0511000 80030042
	s_mul_i32 s60, 4, 0x108                                    // 00000001F090: 923CFF84 00000108
	s_add_u32 m0, m0, s60                                      // 00000001F098: 807C3C7C
	buffer_load_dword v67, s[12:15], 0 offen lds               // 00000001F09C: E0511000 80030043
	s_mul_i32 s60, 4, 0x108                                    // 00000001F0A4: 923CFF84 00000108
	s_add_u32 m0, m0, s60                                      // 00000001F0AC: 807C3C7C
	s_add_u32 s12, s74, s12                                    // 00000001F0B0: 800C0C4A
	s_addc_u32 s13, 0, s13                                     // 00000001F0B4: 820D0D80
	buffer_load_dword v64, s[12:15], 0 offen lds               // 00000001F0B8: E0511000 80030040
	s_mul_i32 s60, 4, 0x108                                    // 00000001F0C0: 923CFF84 00000108
	s_add_u32 m0, m0, s60                                      // 00000001F0C8: 807C3C7C
	buffer_load_dword v65, s[12:15], 0 offen lds               // 00000001F0CC: E0511000 80030041
	s_mul_i32 s60, 4, 0x108                                    // 00000001F0D4: 923CFF84 00000108
	s_add_u32 m0, m0, s60                                      // 00000001F0DC: 807C3C7C
	buffer_load_dword v66, s[12:15], 0 offen lds               // 00000001F0E0: E0511000 80030042
	s_mul_i32 s60, 4, 0x108                                    // 00000001F0E8: 923CFF84 00000108
	s_add_u32 m0, m0, s60                                      // 00000001F0F0: 807C3C7C
	buffer_load_dword v67, s[12:15], 0 offen lds               // 00000001F0F4: E0511000 80030043
	s_mul_i32 s60, 4, 0x108                                    // 00000001F0FC: 923CFF84 00000108
	s_add_u32 m0, m0, s60                                      // 00000001F104: 807C3C7C
	s_add_u32 s12, s74, s12                                    // 00000001F108: 800C0C4A
	s_addc_u32 s13, 0, s13                                     // 00000001F10C: 820D0D80
	buffer_load_dword v64, s[12:15], 0 offen lds               // 00000001F110: E0511000 80030040
	s_mul_i32 s60, 4, 0x108                                    // 00000001F118: 923CFF84 00000108
	s_add_u32 m0, m0, s60                                      // 00000001F120: 807C3C7C
	buffer_load_dword v65, s[12:15], 0 offen lds               // 00000001F124: E0511000 80030041
	s_mul_i32 s60, 4, 0x108                                    // 00000001F12C: 923CFF84 00000108
	s_add_u32 m0, m0, s60                                      // 00000001F134: 807C3C7C
	buffer_load_dword v66, s[12:15], 0 offen lds               // 00000001F138: E0511000 80030042
	s_mul_i32 s60, 4, 0x108                                    // 00000001F140: 923CFF84 00000108
	s_add_u32 m0, m0, s60                                      // 00000001F148: 807C3C7C
	buffer_load_dword v67, s[12:15], 0 offen lds               // 00000001F14C: E0511000 80030043
	s_mul_i32 s60, 4, 0x108                                    // 00000001F154: 923CFF84 00000108
	s_add_u32 m0, m0, s60                                      // 00000001F15C: 807C3C7C
	s_add_u32 s12, s74, s12                                    // 00000001F160: 800C0C4A
	s_addc_u32 s13, 0, s13                                     // 00000001F164: 820D0D80
	v_lshrrev_b32_e32 v64, 4, v0                               // 00000001F168: 20800084
	v_lshlrev_b32_e32 v64, 2, v64                              // 00000001F16C: 24808082
	v_and_b32_e32 v65, 3, v0                                   // 00000001F170: 26820083
	v_add_u32_e32 v64, v65, v64                                // 00000001F174: 68808141
	v_lshlrev_b32_e32 v59, 2, v64                              // 00000001F178: 24768082
	v_mov_b32_e32 v60, v59                                     // 00000001F17C: 7E78033B
	s_mul_i32 s60, s2, 64                                      // 00000001F180: 923CC002
	s_add_u32 s32, s60, s32                                    // 00000001F184: 8020203C
	s_addc_u32 s33, 0, s33                                     // 00000001F188: 82212180
	s_add_u32 s36, s60, s36                                    // 00000001F18C: 8024243C
	s_addc_u32 s37, 0, s37                                     // 00000001F190: 82252580
	s_mul_i32 s60, s2, s76                                     // 00000001F194: 923C4C02
	s_mul_i32 s61, s84, s75                                    // 00000001F198: 923D4B54
	s_add_u32 s60, s60, s61                                    // 00000001F19C: 803C3D3C
	s_add_u32 s8, s60, s8                                      // 00000001F1A0: 8008083C
	s_addc_u32 s9, 0, s9                                       // 00000001F1A4: 82090980
	s_mov_b32 s70, 0                                           // 00000001F1A8: BEC60080
	s_and_b32 s71, s72, 0xffffff00                             // 00000001F1AC: 8647FF48 FFFFFF00
	s_mov_b32 s42, 0xff00ff00                                  // 00000001F1B4: BEAA00FF FF00FF00
	s_mov_b32 s43, 0xff00ff00                                  // 00000001F1BC: BEAB00FF FF00FF00
	s_mov_b32 s44, 0xf0f0f0f0                                  // 00000001F1C4: BEAC00FF F0F0F0F0
	s_mov_b32 s45, 0xf0f0f0f0                                  // 00000001F1CC: BEAD00FF F0F0F0F0
	s_mov_b32 s78, 0xff00ff                                    // 00000001F1D4: BECE00FF 00FF00FF
	s_mov_b32 s79, 0xff00ff                                    // 00000001F1DC: BECF00FF 00FF00FF
	v_mul_i32_i24_e64 v63, 64, s66                             // 00000001F1E4: D106003F 000084C0
	v_mov_b32_e32 v54, s68                                     // 00000001F1EC: 7E6C0244
	s_mov_b32 s52, 0x7060302                                   // 00000001F1F0: BEB400FF 07060302
	s_mov_b32 s53, 0x400                                       // 00000001F1F8: BEB500FF 00000400
	s_mov_b32 s54, 0x40100                                     // 00000001F200: BEB600FF 00040100
	s_mov_b32 s55, 0x4020100                                   // 00000001F208: BEB700FF 04020100
	s_mov_b32 s6, 0x3fb8aa3b                                   // 00000001F210: BE8600FF 3FB8AA3B
	v_mov_b32_e32 v11, 0xff800000                              // 00000001F218: 7E1602FF FF800000
	v_mov_b32_e32 v12, 0xff800000                              // 00000001F220: 7E1802FF FF800000
	v_mov_b32_e32 v49, 0                                       // 00000001F228: 7E620280
	v_mov_b32_e32 v50, 0                                       // 00000001F22C: 7E640280
	v_mov_b32_e32 v51, 0                                       // 00000001F230: 7E660280
	v_mov_b32_e32 v52, 0                                       // 00000001F234: 7E680280
	v_mov_b32_e32 v38, 0                                       // 00000001F238: 7E4C0280
	v_mov_b32_e32 v39, 0                                       // 00000001F23C: 7E4E0280
	v_mov_b32_e32 v40, 0                                       // 00000001F240: 7E500280
	v_mov_b32_e32 v41, 0                                       // 00000001F244: 7E520280
	v_mov_b32_e32 v44, 0                                       // 00000001F248: 7E580280
	v_mov_b32_e32 v45, 0                                       // 00000001F24C: 7E5A0280
	v_mov_b32_e32 v46, 0                                       // 00000001F250: 7E5C0280
	v_mov_b32_e32 v47, 0                                       // 00000001F254: 7E5E0280
	v_add_u32_e32 v1, s56, v1                                  // 00000001F258: 68020238
	v_and_b32_e32 v7, 15, v0                                   // 00000001F25C: 260E008F
	v_lshlrev_b32_e32 v7, 2, v7                                // 00000001F260: 240E0E82
	v_lshlrev_b32_e32 v8, 2, v0                                // 00000001F264: 24100082
	s_mul_i32 s60, 0x100, s7                                   // 00000001F268: 923C07FF 00000100
	v_add_u32_e32 v8, s60, v8                                  // 00000001F270: 6810103C
	v_lshrrev_b32_e32 v64, 4, v0                               // 00000001F274: 20800084
	v_lshlrev_b32_e32 v65, 6, v64                              // 00000001F278: 24828086
	v_and_b32_e32 v64, 15, v0                                  // 00000001F27C: 2680008F
	v_lshlrev_b32_e32 v64, 1, v64                              // 00000001F280: 24808081
	v_add_u32_e32 v65, v64, v65                                // 00000001F284: 68828340
	v_lshlrev_b32_e32 v9, 2, v65                               // 00000001F288: 24128282
	v_lshrrev_b32_e32 v64, 5, v0                               // 00000001F28C: 20800085
	v_lshlrev_b32_e32 v65, 5, v64                              // 00000001F290: 24828085
	v_and_b32_e32 v64, 31, v0                                  // 00000001F294: 2680009F
	v_lshrrev_b32_e32 v66, 4, v64                              // 00000001F298: 20848084
	v_add_u32_e32 v65, v66, v65                                // 00000001F29C: 68828342
	v_and_b32_e32 v64, 15, v0                                  // 00000001F2A0: 2680008F
	v_lshlrev_b32_e32 v64, 1, v64                              // 00000001F2A4: 24808081
	v_add_u32_e32 v65, v64, v65                                // 00000001F2A8: 68828340
	v_lshlrev_b32_e32 v64, 2, v65                              // 00000001F2AC: 24808282
	s_mul_i32 s60, 0x100, s7                                   // 00000001F2B0: 923C07FF 00000100
	v_add_u32_e64 v10, v64, s60                                // 00000001F2B8: D134000A 00007940
	v_lshlrev_b32_e32 v5, 4, v0                                // 00000001F2C0: 240A0084
	s_mul_i32 s60, s2, s69                                     // 00000001F2C4: 923C4502
	s_add_u32 s16, s60, s16                                    // 00000001F2C8: 8010103C
	s_addc_u32 s17, 0, s17                                     // 00000001F2CC: 82111180
	v_and_b32_e32 v64, 15, v0                                  // 00000001F2D0: 2680008F
	v_lshlrev_b32_e32 v6, 4, v64                               // 00000001F2D4: 240C8084
	s_mul_i32 s61, s2, s69                                     // 00000001F2D8: 923D4502
	s_mul_i32 s60, s7, 0x100                                   // 00000001F2DC: 923CFF07 00000100
	s_add_u32 s60, s60, s61                                    // 00000001F2E4: 803C3D3C
	s_add_u32 s20, s60, s20                                    // 00000001F2E8: 8014143C
	s_addc_u32 s21, 0, s21                                     // 00000001F2EC: 82151580
	s_waitcnt vmcnt(4)                                         // 00000001F2F0: BF8C0F74
	v_mul_u32_u24_dpp v64, v16, v54 row_newbcast:0 row_mask:0xf bank_mask:0xf// 00000001F2F4: 10806CFA FF015010
	v_mul_u32_u24_dpp v65, v16, v54 row_newbcast:4 row_mask:0xf bank_mask:0xf// 00000001F2FC: 10826CFA FF015410
	v_mul_u32_u24_dpp v66, v16, v54 row_newbcast:8 row_mask:0xf bank_mask:0xf// 00000001F304: 10846CFA FF015810
	v_mul_u32_u24_dpp v67, v16, v54 row_newbcast:12 row_mask:0xf bank_mask:0xf// 00000001F30C: 10866CFA FF015C10
	v_add_u32_e32 v22, v64, v5                                 // 00000001F314: 682C0B40
	v_add_u32_e32 v23, v65, v5                                 // 00000001F318: 682E0B41
	v_add_u32_e32 v24, v66, v5                                 // 00000001F31C: 68300B42
	v_add_u32_e32 v25, v67, v5                                 // 00000001F320: 68320B43
	v_mul_u32_u24_dpp v64, v16, v54 row_newbcast:1 row_mask:0xf bank_mask:0xf// 00000001F324: 10806CFA FF015110
	v_mul_u32_u24_dpp v65, v16, v54 row_newbcast:5 row_mask:0xf bank_mask:0xf// 00000001F32C: 10826CFA FF015510
	v_mul_u32_u24_dpp v66, v16, v54 row_newbcast:9 row_mask:0xf bank_mask:0xf// 00000001F334: 10846CFA FF015910
	v_mul_u32_u24_dpp v67, v16, v54 row_newbcast:13 row_mask:0xf bank_mask:0xf// 00000001F33C: 10866CFA FF015D10
	v_add_u32_e32 v30, v64, v6                                 // 00000001F344: 683C0D40
	v_add_u32_e32 v31, v65, v6                                 // 00000001F348: 683E0D41
	v_add_u32_e32 v32, v66, v6                                 // 00000001F34C: 68400D42
	v_add_u32_e32 v33, v67, v6                                 // 00000001F350: 68420D43
	v_mul_u32_u24_dpp v64, v16, v63 quad_perm:[0,0,0,0] row_mask:0xf bank_mask:0xf// 00000001F354: 10807EFA FF000010
	v_add_u32_e32 v2, v64, v59                                 // 00000001F35C: 68047740
	v_mul_u32_u24_dpp v64, v16, v63 quad_perm:[0,0,0,0] row_mask:0xf bank_mask:0xf// 00000001F360: 10807EFA FF000010
	v_add_u32_e32 v55, v64, v60                                // 00000001F368: 686E7940
	buffer_load_dword v42, v2, s[32:35], 0 offen               // 00000001F36C: E0501000 80082A02
	buffer_load_dwordx4 a[0:3], v22, s[16:19], 0 offen         // 00000001F374: E05C1000 80840016
	buffer_load_dwordx4 a[4:7], v22, s[16:19], 0 offen offset:1024// 00000001F37C: E05C1400 80840416
	buffer_load_dwordx4 a[8:11], v23, s[16:19], 0 offen        // 00000001F384: E05C1000 80840817
	buffer_load_dwordx4 a[12:15], v23, s[16:19], 0 offen offset:1024// 00000001F38C: E05C1400 80840C17
	buffer_load_dwordx4 a[16:19], v24, s[16:19], 0 offen       // 00000001F394: E05C1000 80841018
	buffer_load_dwordx4 a[20:23], v24, s[16:19], 0 offen offset:1024// 00000001F39C: E05C1400 80841418
	buffer_load_dwordx4 a[24:27], v25, s[16:19], 0 offen       // 00000001F3A4: E05C1000 80841819
	buffer_load_dwordx4 a[28:31], v25, s[16:19], 0 offen offset:1024// 00000001F3AC: E05C1400 80841C19
	buffer_load_dword v57, v55, s[36:39], 0 offen              // 00000001F3B4: E0501000 80093937
	buffer_load_dwordx4 a[64:67], v30, s[20:23], 0 offen       // 00000001F3BC: E05C1000 8085401E
	buffer_load_dwordx4 a[68:71], v31, s[20:23], 0 offen       // 00000001F3C4: E05C1000 8085441F
	buffer_load_dwordx4 a[72:75], v32, s[20:23], 0 offen       // 00000001F3CC: E05C1000 80854820
	buffer_load_dwordx4 a[76:79], v33, s[20:23], 0 offen       // 00000001F3D4: E05C1000 80854C21
	buffer_load_dwordx4 a[80:83], v30, s[20:23], 0 offen offset:1024// 00000001F3DC: E05C1400 8085501E
	buffer_load_dwordx4 a[84:87], v31, s[20:23], 0 offen offset:1024// 00000001F3E4: E05C1400 8085541F
	buffer_load_dwordx4 a[88:91], v32, s[20:23], 0 offen offset:1024// 00000001F3EC: E05C1400 80855820
	buffer_load_dwordx4 a[92:95], v33, s[20:23], 0 offen offset:1024// 00000001F3F4: E05C1400 80855C21
	v_lshrrev_b32_e32 v64, 4, v0                               // 00000001F3FC: 20800084
	v_lshlrev_b32_e32 v65, 1, v64                              // 00000001F400: 24828081
	v_and_b32_e32 v64, 15, v0                                  // 00000001F404: 2680008F
	v_mul_i32_i24_e32 v64, 0x42, v64                           // 00000001F408: 0C8080FF 00000042
	v_add_u32_e32 v65, v64, v65                                // 00000001F410: 68828340
	v_lshlrev_b32_e32 v4, 2, v65                               // 00000001F414: 24088282
	s_mul_i32 s60, s7, 32                                      // 00000001F418: 923CA007
	v_add_u32_e32 v4, s60, v4                                  // 00000001F41C: 6808083C
	s_waitcnt vmcnt(16) lgkmcnt(0)                             // 00000001F420: BF8C4070
	s_barrier                                                  // 00000001F424: BF8A0000
	ds_read_b64 v[80:81], v4                                   // 00000001F428: D8EC0000 50000004
	ds_read_b64 v[84:85], v4 offset:128                        // 00000001F430: D8EC0080 54000004
	s_waitcnt lgkmcnt(0)                                       // 00000001F438: BF8CC07F
	v_and_b32_e32 v83, 0xffff0000, v81                         // 00000001F43C: 26A6A2FF FFFF0000
	v_lshlrev_b32_e32 v82, 16, v81                             // 00000001F444: 24A4A290
	v_and_b32_e32 v81, 0xffff0000, v80                         // 00000001F448: 26A2A0FF FFFF0000
	v_lshlrev_b32_e32 v80, 16, v80                             // 00000001F450: 24A0A090
	v_and_b32_e32 v87, 0xffff0000, v85                         // 00000001F454: 26AEAAFF FFFF0000
	v_lshlrev_b32_e32 v86, 16, v85                             // 00000001F45C: 24ACAA90
	v_and_b32_e32 v85, 0xffff0000, v84                         // 00000001F460: 26AAA8FF FFFF0000
	v_lshlrev_b32_e32 v84, 16, v84                             // 00000001F468: 24A8A890
	v_mov_b32_e32 v48, 0x358637bd                              // 00000001F46C: 7E6002FF 358637BD
	v_max3_f32 v48, |v80|, |v81|, v48                          // 00000001F474: D1D30330 04C2A350
	v_max3_f32 v48, |v82|, |v83|, v48                          // 00000001F47C: D1D30330 04C2A752
	v_max3_f32 v48, |v84|, |v85|, v48                          // 00000001F484: D1D30330 04C2AB54
	v_max3_f32 v48, |v86|, |v87|, v48                          // 00000001F48C: D1D30330 04C2AF56
	ds_write_b32 v8, v48 offset:16896                          // 00000001F494: D81A4200 00003008
	s_waitcnt lgkmcnt(0)                                       // 00000001F49C: BF8CC07F
	s_barrier                                                  // 00000001F4A0: BF8A0000
	ds_read_b32 v64, v7 offset:16896                           // 00000001F4A4: D86C4200 40000007
	ds_read_b32 v65, v7 offset:16960                           // 00000001F4AC: D86C4240 41000007
	ds_read_b32 v66, v7 offset:17024                           // 00000001F4B4: D86C4280 42000007
	ds_read_b32 v67, v7 offset:17088                           // 00000001F4BC: D86C42C0 43000007
	ds_read_b32 v68, v7 offset:17152                           // 00000001F4C4: D86C4300 44000007
	ds_read_b32 v69, v7 offset:17216                           // 00000001F4CC: D86C4340 45000007
	ds_read_b32 v70, v7 offset:17280                           // 00000001F4D4: D86C4380 46000007
	ds_read_b32 v71, v7 offset:17344                           // 00000001F4DC: D86C43C0 47000007
	ds_read_b32 v72, v7 offset:17408                           // 00000001F4E4: D86C4400 48000007
	ds_read_b32 v73, v7 offset:17472                           // 00000001F4EC: D86C4440 49000007
	ds_read_b32 v74, v7 offset:17536                           // 00000001F4F4: D86C4480 4A000007
	ds_read_b32 v75, v7 offset:17600                           // 00000001F4FC: D86C44C0 4B000007
	ds_read_b32 v76, v7 offset:17664                           // 00000001F504: D86C4500 4C000007
	ds_read_b32 v77, v7 offset:17728                           // 00000001F50C: D86C4540 4D000007
	ds_read_b32 v78, v7 offset:17792                           // 00000001F514: D86C4580 4E000007
	ds_read_b32 v79, v7 offset:17856                           // 00000001F51C: D86C45C0 4F000007
	s_waitcnt lgkmcnt(0)                                       // 00000001F524: BF8CC07F
	v_max3_f32 v48, |v64|, |v65|, v48                          // 00000001F528: D1D30330 04C28340
	v_max3_f32 v48, |v66|, |v67|, v48                          // 00000001F530: D1D30330 04C28742
	v_max3_f32 v48, |v68|, |v69|, v48                          // 00000001F538: D1D30330 04C28B44
	v_max3_f32 v48, |v70|, |v71|, v48                          // 00000001F540: D1D30330 04C28F46
	v_max3_f32 v48, |v72|, |v73|, v48                          // 00000001F548: D1D30330 04C29348
	v_max3_f32 v48, |v74|, |v75|, v48                          // 00000001F550: D1D30330 04C2974A
	v_max3_f32 v48, |v76|, |v77|, v48                          // 00000001F558: D1D30330 04C29B4C
	v_max3_f32 v48, |v78|, |v79|, v48                          // 00000001F560: D1D30330 04C29F4E
	v_rcp_f32_e32 v48, v48                                     // 00000001F568: 7E604530
	s_nop 1                                                    // 00000001F56C: BF800001
	v_mul_f32_e32 v48, 0x42fe0000, v48                         // 00000001F570: 0A6060FF 42FE0000
	v_mul_f32_e32 v80, v48, v80                                // 00000001F578: 0AA0A130
	v_mul_f32_e32 v81, v48, v81                                // 00000001F57C: 0AA2A330
	v_mul_f32_e32 v82, v48, v82                                // 00000001F580: 0AA4A530
	v_mul_f32_e32 v83, v48, v83                                // 00000001F584: 0AA6A730
	v_mul_f32_e32 v84, v48, v84                                // 00000001F588: 0AA8A930
	v_mul_f32_e32 v85, v48, v85                                // 00000001F58C: 0AAAAB30
	v_mul_f32_e32 v86, v48, v86                                // 00000001F590: 0AACAD30
	v_mul_f32_e32 v87, v48, v87                                // 00000001F594: 0AAEAF30
	v_cvt_i32_f32_e32 v80, v80                                 // 00000001F598: 7EA01150
	v_cvt_i32_f32_e32 v81, v81                                 // 00000001F59C: 7EA21151
	v_cvt_i32_f32_e32 v82, v82                                 // 00000001F5A0: 7EA41152
	v_cvt_i32_f32_e32 v83, v83                                 // 00000001F5A4: 7EA61153
	v_cvt_i32_f32_e32 v84, v84                                 // 00000001F5A8: 7EA81154
	v_cvt_i32_f32_e32 v85, v85                                 // 00000001F5AC: 7EAA1155
	v_cvt_i32_f32_e32 v86, v86                                 // 00000001F5B0: 7EAC1156
	v_cvt_i32_f32_e32 v87, v87                                 // 00000001F5B4: 7EAE1157
	v_rcp_f32_e32 v18, v48                                     // 00000001F5B8: 7E244530
	v_perm_b32 v80, v81, v80, s53                              // 00000001F5BC: D1ED0050 00D6A151
	v_perm_b32 v80, v82, v80, s54                              // 00000001F5C4: D1ED0050 00DAA152
	v_perm_b32 v80, v83, v80, s55                              // 00000001F5CC: D1ED0050 00DEA153
	v_perm_b32 v81, v85, v84, s53                              // 00000001F5D4: D1ED0051 00D6A955
	v_perm_b32 v81, v86, v81, s54                              // 00000001F5DC: D1ED0051 00DAA356
	v_perm_b32 v81, v87, v81, s55                              // 00000001F5E4: D1ED0051 00DEA357
	ds_write_b32 v10, v80 offset:25088                         // 00000001F5EC: D81A6200 0000500A
	ds_write_b32 v10, v81 offset:26112                         // 00000001F5F4: D81A6600 0000510A
	s_waitcnt lgkmcnt(0)                                       // 00000001F5FC: BF8CC07F
	s_barrier                                                  // 00000001F600: BF8A0000
	ds_read_b64 v[80:81], v9 offset:25088                      // 00000001F604: D8EC6200 50000009
	ds_read_b64 v[82:83], v9 offset:25216                      // 00000001F60C: D8EC6280 52000009
	ds_read_b64 v[84:85], v9 offset:26112                      // 00000001F614: D8EC6600 54000009
	ds_read_b64 v[86:87], v9 offset:26240                      // 00000001F61C: D8EC6680 56000009
	v_mov_b32_e32 v208, 0                                      // 00000001F624: 7FA00280
	v_mov_b32_e32 v209, 0                                      // 00000001F628: 7FA20280
	v_mov_b32_e32 v210, 0                                      // 00000001F62C: 7FA40280
	v_mov_b32_e32 v211, 0                                      // 00000001F630: 7FA60280
	v_mov_b32_e32 v212, 0                                      // 00000001F634: 7FA80280
	v_mov_b32_e32 v213, 0                                      // 00000001F638: 7FAA0280
	v_mov_b32_e32 v214, 0                                      // 00000001F63C: 7FAC0280
	v_mov_b32_e32 v215, 0                                      // 00000001F640: 7FAE0280
	v_mov_b32_e32 v176, 0                                      // 00000001F644: 7F600280
	v_mov_b32_e32 v177, 0                                      // 00000001F648: 7F620280
	v_mov_b32_e32 v178, 0                                      // 00000001F64C: 7F640280
	v_mov_b32_e32 v179, 0                                      // 00000001F650: 7F660280
	v_mov_b32_e32 v180, 0                                      // 00000001F654: 7F680280
	v_mov_b32_e32 v181, 0                                      // 00000001F658: 7F6A0280
	v_mov_b32_e32 v182, 0                                      // 00000001F65C: 7F6C0280
	v_mov_b32_e32 v183, 0                                      // 00000001F660: 7F6E0280
	ds_read_b64 v[88:89], v4 offset:4224                       // 00000001F664: D8EC1080 58000004
	ds_read_b64 v[92:93], v4 offset:4352                       // 00000001F66C: D8EC1100 5C000004
	s_waitcnt lgkmcnt(0)                                       // 00000001F674: BF8CC07F
	v_and_b32_e32 v91, 0xffff0000, v89                         // 00000001F678: 26B6B2FF FFFF0000
	v_lshlrev_b32_e32 v90, 16, v89                             // 00000001F680: 24B4B290
	v_and_b32_e32 v89, 0xffff0000, v88                         // 00000001F684: 26B2B0FF FFFF0000
	v_lshlrev_b32_e32 v88, 16, v88                             // 00000001F68C: 24B0B090
	v_and_b32_e32 v95, 0xffff0000, v93                         // 00000001F690: 26BEBAFF FFFF0000
	v_lshlrev_b32_e32 v94, 16, v93                             // 00000001F698: 24BCBA90
	v_and_b32_e32 v93, 0xffff0000, v92                         // 00000001F69C: 26BAB8FF FFFF0000
	v_lshlrev_b32_e32 v92, 16, v92                             // 00000001F6A4: 24B8B890
	v_mov_b32_e32 v48, 0x358637bd                              // 00000001F6A8: 7E6002FF 358637BD
	v_max3_f32 v48, |v88|, |v89|, v48                          // 00000001F6B0: D1D30330 04C2B358
	v_max3_f32 v48, |v90|, |v91|, v48                          // 00000001F6B8: D1D30330 04C2B75A
	v_max3_f32 v48, |v92|, |v93|, v48                          // 00000001F6C0: D1D30330 04C2BB5C
	v_max3_f32 v48, |v94|, |v95|, v48                          // 00000001F6C8: D1D30330 04C2BF5E
	ds_write_b32 v8, v48 offset:16896                          // 00000001F6D0: D81A4200 00003008
	s_waitcnt lgkmcnt(0)                                       // 00000001F6D8: BF8CC07F
	s_barrier                                                  // 00000001F6DC: BF8A0000
	ds_read_b32 v64, v7 offset:16896                           // 00000001F6E0: D86C4200 40000007
	ds_read_b32 v65, v7 offset:16960                           // 00000001F6E8: D86C4240 41000007
	ds_read_b32 v66, v7 offset:17024                           // 00000001F6F0: D86C4280 42000007
	ds_read_b32 v67, v7 offset:17088                           // 00000001F6F8: D86C42C0 43000007
	ds_read_b32 v68, v7 offset:17152                           // 00000001F700: D86C4300 44000007
	ds_read_b32 v69, v7 offset:17216                           // 00000001F708: D86C4340 45000007
	ds_read_b32 v70, v7 offset:17280                           // 00000001F710: D86C4380 46000007
	ds_read_b32 v71, v7 offset:17344                           // 00000001F718: D86C43C0 47000007
	ds_read_b32 v72, v7 offset:17408                           // 00000001F720: D86C4400 48000007
	ds_read_b32 v73, v7 offset:17472                           // 00000001F728: D86C4440 49000007
	ds_read_b32 v74, v7 offset:17536                           // 00000001F730: D86C4480 4A000007
	ds_read_b32 v75, v7 offset:17600                           // 00000001F738: D86C44C0 4B000007
	ds_read_b32 v76, v7 offset:17664                           // 00000001F740: D86C4500 4C000007
	ds_read_b32 v77, v7 offset:17728                           // 00000001F748: D86C4540 4D000007
	ds_read_b32 v78, v7 offset:17792                           // 00000001F750: D86C4580 4E000007
	ds_read_b32 v79, v7 offset:17856                           // 00000001F758: D86C45C0 4F000007
	s_waitcnt lgkmcnt(0)                                       // 00000001F760: BF8CC07F
	v_max3_f32 v48, |v64|, |v65|, v48                          // 00000001F764: D1D30330 04C28340
	v_max3_f32 v48, |v66|, |v67|, v48                          // 00000001F76C: D1D30330 04C28742
	v_max3_f32 v48, |v68|, |v69|, v48                          // 00000001F774: D1D30330 04C28B44
	v_max3_f32 v48, |v70|, |v71|, v48                          // 00000001F77C: D1D30330 04C28F46
	v_max3_f32 v48, |v72|, |v73|, v48                          // 00000001F784: D1D30330 04C29348
	v_max3_f32 v48, |v74|, |v75|, v48                          // 00000001F78C: D1D30330 04C2974A
	v_max3_f32 v48, |v76|, |v77|, v48                          // 00000001F794: D1D30330 04C29B4C
	v_max3_f32 v48, |v78|, |v79|, v48                          // 00000001F79C: D1D30330 04C29F4E
	v_rcp_f32_e32 v48, v48                                     // 00000001F7A4: 7E604530
	s_nop 1                                                    // 00000001F7A8: BF800001
	v_mul_f32_e32 v48, 0x42fe0000, v48                         // 00000001F7AC: 0A6060FF 42FE0000
	v_mul_f32_e32 v88, v48, v88                                // 00000001F7B4: 0AB0B130
	v_mul_f32_e32 v89, v48, v89                                // 00000001F7B8: 0AB2B330
	v_mul_f32_e32 v90, v48, v90                                // 00000001F7BC: 0AB4B530
	v_mul_f32_e32 v91, v48, v91                                // 00000001F7C0: 0AB6B730
	v_mul_f32_e32 v92, v48, v92                                // 00000001F7C4: 0AB8B930
	v_mul_f32_e32 v93, v48, v93                                // 00000001F7C8: 0ABABB30
	v_mul_f32_e32 v94, v48, v94                                // 00000001F7CC: 0ABCBD30
	v_mul_f32_e32 v95, v48, v95                                // 00000001F7D0: 0ABEBF30
	v_cvt_i32_f32_e32 v88, v88                                 // 00000001F7D4: 7EB01158
	v_cvt_i32_f32_e32 v89, v89                                 // 00000001F7D8: 7EB21159
	v_cvt_i32_f32_e32 v90, v90                                 // 00000001F7DC: 7EB4115A
	v_cvt_i32_f32_e32 v91, v91                                 // 00000001F7E0: 7EB6115B
	v_cvt_i32_f32_e32 v92, v92                                 // 00000001F7E4: 7EB8115C
	v_cvt_i32_f32_e32 v93, v93                                 // 00000001F7E8: 7EBA115D
	v_cvt_i32_f32_e32 v94, v94                                 // 00000001F7EC: 7EBC115E
	v_cvt_i32_f32_e32 v95, v95                                 // 00000001F7F0: 7EBE115F
	v_rcp_f32_e32 v19, v48                                     // 00000001F7F4: 7E264530
	v_perm_b32 v88, v89, v88, s53                              // 00000001F7F8: D1ED0058 00D6B159
	v_perm_b32 v88, v90, v88, s54                              // 00000001F800: D1ED0058 00DAB15A
	v_perm_b32 v88, v91, v88, s55                              // 00000001F808: D1ED0058 00DEB15B
	v_perm_b32 v89, v93, v92, s53                              // 00000001F810: D1ED0059 00D6B95D
	v_perm_b32 v89, v94, v89, s54                              // 00000001F818: D1ED0059 00DAB35E
	v_perm_b32 v89, v95, v89, s55                              // 00000001F820: D1ED0059 00DEB35F
	ds_write_b32 v10, v88 offset:25088                         // 00000001F828: D81A6200 0000580A
	ds_write_b32 v10, v89 offset:26112                         // 00000001F830: D81A6600 0000590A
	s_waitcnt lgkmcnt(0)                                       // 00000001F838: BF8CC07F
	s_barrier                                                  // 00000001F83C: BF8A0000
	ds_read_b64 v[88:89], v9 offset:25088                      // 00000001F840: D8EC6200 58000009
	ds_read_b64 v[90:91], v9 offset:25216                      // 00000001F848: D8EC6280 5A000009
	ds_read_b64 v[92:93], v9 offset:26112                      // 00000001F850: D8EC6600 5C000009
	ds_read_b64 v[94:95], v9 offset:26240                      // 00000001F858: D8EC6680 5E000009
	v_mov_b32_e32 v216, 0                                      // 00000001F860: 7FB00280
	v_mov_b32_e32 v217, 0                                      // 00000001F864: 7FB20280
	v_mov_b32_e32 v218, 0                                      // 00000001F868: 7FB40280
	v_mov_b32_e32 v219, 0                                      // 00000001F86C: 7FB60280
	v_mov_b32_e32 v220, 0                                      // 00000001F870: 7FB80280
	v_mov_b32_e32 v221, 0                                      // 00000001F874: 7FBA0280
	v_mov_b32_e32 v222, 0                                      // 00000001F878: 7FBC0280
	v_mov_b32_e32 v223, 0                                      // 00000001F87C: 7FBE0280
	v_mov_b32_e32 v184, 0                                      // 00000001F880: 7F700280
	v_mov_b32_e32 v185, 0                                      // 00000001F884: 7F720280
	v_mov_b32_e32 v186, 0                                      // 00000001F888: 7F740280
	v_mov_b32_e32 v187, 0                                      // 00000001F88C: 7F760280
	v_mov_b32_e32 v188, 0                                      // 00000001F890: 7F780280
	v_mov_b32_e32 v189, 0                                      // 00000001F894: 7F7A0280
	v_mov_b32_e32 v190, 0                                      // 00000001F898: 7F7C0280
	v_mov_b32_e32 v191, 0                                      // 00000001F89C: 7F7E0280
	ds_read_b64 v[96:97], v4 offset:8448                       // 00000001F8A0: D8EC2100 60000004
	ds_read_b64 v[100:101], v4 offset:8576                     // 00000001F8A8: D8EC2180 64000004
	s_waitcnt lgkmcnt(0)                                       // 00000001F8B0: BF8CC07F
	v_and_b32_e32 v99, 0xffff0000, v97                         // 00000001F8B4: 26C6C2FF FFFF0000
	v_lshlrev_b32_e32 v98, 16, v97                             // 00000001F8BC: 24C4C290
	v_and_b32_e32 v97, 0xffff0000, v96                         // 00000001F8C0: 26C2C0FF FFFF0000
	v_lshlrev_b32_e32 v96, 16, v96                             // 00000001F8C8: 24C0C090
	v_and_b32_e32 v103, 0xffff0000, v101                       // 00000001F8CC: 26CECAFF FFFF0000
	v_lshlrev_b32_e32 v102, 16, v101                           // 00000001F8D4: 24CCCA90
	v_and_b32_e32 v101, 0xffff0000, v100                       // 00000001F8D8: 26CAC8FF FFFF0000
	v_lshlrev_b32_e32 v100, 16, v100                           // 00000001F8E0: 24C8C890
	v_mov_b32_e32 v48, 0x358637bd                              // 00000001F8E4: 7E6002FF 358637BD
	v_max3_f32 v48, |v96|, |v97|, v48                          // 00000001F8EC: D1D30330 04C2C360
	v_max3_f32 v48, |v98|, |v99|, v48                          // 00000001F8F4: D1D30330 04C2C762
	v_max3_f32 v48, |v100|, |v101|, v48                        // 00000001F8FC: D1D30330 04C2CB64
	v_max3_f32 v48, |v102|, |v103|, v48                        // 00000001F904: D1D30330 04C2CF66
	ds_write_b32 v8, v48 offset:16896                          // 00000001F90C: D81A4200 00003008
	s_waitcnt lgkmcnt(0)                                       // 00000001F914: BF8CC07F
	s_barrier                                                  // 00000001F918: BF8A0000
	ds_read_b32 v64, v7 offset:16896                           // 00000001F91C: D86C4200 40000007
	ds_read_b32 v65, v7 offset:16960                           // 00000001F924: D86C4240 41000007
	ds_read_b32 v66, v7 offset:17024                           // 00000001F92C: D86C4280 42000007
	ds_read_b32 v67, v7 offset:17088                           // 00000001F934: D86C42C0 43000007
	ds_read_b32 v68, v7 offset:17152                           // 00000001F93C: D86C4300 44000007
	ds_read_b32 v69, v7 offset:17216                           // 00000001F944: D86C4340 45000007
	ds_read_b32 v70, v7 offset:17280                           // 00000001F94C: D86C4380 46000007
	ds_read_b32 v71, v7 offset:17344                           // 00000001F954: D86C43C0 47000007
	ds_read_b32 v72, v7 offset:17408                           // 00000001F95C: D86C4400 48000007
	ds_read_b32 v73, v7 offset:17472                           // 00000001F964: D86C4440 49000007
	ds_read_b32 v74, v7 offset:17536                           // 00000001F96C: D86C4480 4A000007
	ds_read_b32 v75, v7 offset:17600                           // 00000001F974: D86C44C0 4B000007
	ds_read_b32 v76, v7 offset:17664                           // 00000001F97C: D86C4500 4C000007
	ds_read_b32 v77, v7 offset:17728                           // 00000001F984: D86C4540 4D000007
	ds_read_b32 v78, v7 offset:17792                           // 00000001F98C: D86C4580 4E000007
	ds_read_b32 v79, v7 offset:17856                           // 00000001F994: D86C45C0 4F000007
	s_waitcnt lgkmcnt(0)                                       // 00000001F99C: BF8CC07F
	v_max3_f32 v48, |v64|, |v65|, v48                          // 00000001F9A0: D1D30330 04C28340
	v_max3_f32 v48, |v66|, |v67|, v48                          // 00000001F9A8: D1D30330 04C28742
	v_max3_f32 v48, |v68|, |v69|, v48                          // 00000001F9B0: D1D30330 04C28B44
	v_max3_f32 v48, |v70|, |v71|, v48                          // 00000001F9B8: D1D30330 04C28F46
	v_max3_f32 v48, |v72|, |v73|, v48                          // 00000001F9C0: D1D30330 04C29348
	v_max3_f32 v48, |v74|, |v75|, v48                          // 00000001F9C8: D1D30330 04C2974A
	v_max3_f32 v48, |v76|, |v77|, v48                          // 00000001F9D0: D1D30330 04C29B4C
	v_max3_f32 v48, |v78|, |v79|, v48                          // 00000001F9D8: D1D30330 04C29F4E
	v_rcp_f32_e32 v48, v48                                     // 00000001F9E0: 7E604530
	s_nop 1                                                    // 00000001F9E4: BF800001
	v_mul_f32_e32 v48, 0x42fe0000, v48                         // 00000001F9E8: 0A6060FF 42FE0000
	v_mul_f32_e32 v96, v48, v96                                // 00000001F9F0: 0AC0C130
	v_mul_f32_e32 v97, v48, v97                                // 00000001F9F4: 0AC2C330
	v_mul_f32_e32 v98, v48, v98                                // 00000001F9F8: 0AC4C530
	v_mul_f32_e32 v99, v48, v99                                // 00000001F9FC: 0AC6C730
	v_mul_f32_e32 v100, v48, v100                              // 00000001FA00: 0AC8C930
	v_mul_f32_e32 v101, v48, v101                              // 00000001FA04: 0ACACB30
	v_mul_f32_e32 v102, v48, v102                              // 00000001FA08: 0ACCCD30
	v_mul_f32_e32 v103, v48, v103                              // 00000001FA0C: 0ACECF30
	v_cvt_i32_f32_e32 v96, v96                                 // 00000001FA10: 7EC01160
	v_cvt_i32_f32_e32 v97, v97                                 // 00000001FA14: 7EC21161
	v_cvt_i32_f32_e32 v98, v98                                 // 00000001FA18: 7EC41162
	v_cvt_i32_f32_e32 v99, v99                                 // 00000001FA1C: 7EC61163
	v_cvt_i32_f32_e32 v100, v100                               // 00000001FA20: 7EC81164
	v_cvt_i32_f32_e32 v101, v101                               // 00000001FA24: 7ECA1165
	v_cvt_i32_f32_e32 v102, v102                               // 00000001FA28: 7ECC1166
	v_cvt_i32_f32_e32 v103, v103                               // 00000001FA2C: 7ECE1167
	v_rcp_f32_e32 v20, v48                                     // 00000001FA30: 7E284530
	v_perm_b32 v96, v97, v96, s53                              // 00000001FA34: D1ED0060 00D6C161
	v_perm_b32 v96, v98, v96, s54                              // 00000001FA3C: D1ED0060 00DAC162
	v_perm_b32 v96, v99, v96, s55                              // 00000001FA44: D1ED0060 00DEC163
	v_perm_b32 v97, v101, v100, s53                            // 00000001FA4C: D1ED0061 00D6C965
	v_perm_b32 v97, v102, v97, s54                             // 00000001FA54: D1ED0061 00DAC366
	v_perm_b32 v97, v103, v97, s55                             // 00000001FA5C: D1ED0061 00DEC367
	ds_write_b32 v10, v96 offset:25088                         // 00000001FA64: D81A6200 0000600A
	ds_write_b32 v10, v97 offset:26112                         // 00000001FA6C: D81A6600 0000610A
	s_waitcnt lgkmcnt(0)                                       // 00000001FA74: BF8CC07F
	s_barrier                                                  // 00000001FA78: BF8A0000
	ds_read_b64 v[96:97], v9 offset:25088                      // 00000001FA7C: D8EC6200 60000009
	ds_read_b64 v[98:99], v9 offset:25216                      // 00000001FA84: D8EC6280 62000009
	ds_read_b64 v[100:101], v9 offset:26112                    // 00000001FA8C: D8EC6600 64000009
	ds_read_b64 v[102:103], v9 offset:26240                    // 00000001FA94: D8EC6680 66000009
	v_mov_b32_e32 v224, 0                                      // 00000001FA9C: 7FC00280
	v_mov_b32_e32 v225, 0                                      // 00000001FAA0: 7FC20280
	v_mov_b32_e32 v226, 0                                      // 00000001FAA4: 7FC40280
	v_mov_b32_e32 v227, 0                                      // 00000001FAA8: 7FC60280
	v_mov_b32_e32 v228, 0                                      // 00000001FAAC: 7FC80280
	v_mov_b32_e32 v229, 0                                      // 00000001FAB0: 7FCA0280
	v_mov_b32_e32 v230, 0                                      // 00000001FAB4: 7FCC0280
	v_mov_b32_e32 v231, 0                                      // 00000001FAB8: 7FCE0280
	v_mov_b32_e32 v192, 0                                      // 00000001FABC: 7F800280
	v_mov_b32_e32 v193, 0                                      // 00000001FAC0: 7F820280
	v_mov_b32_e32 v194, 0                                      // 00000001FAC4: 7F840280
	v_mov_b32_e32 v195, 0                                      // 00000001FAC8: 7F860280
	v_mov_b32_e32 v196, 0                                      // 00000001FACC: 7F880280
	v_mov_b32_e32 v197, 0                                      // 00000001FAD0: 7F8A0280
	v_mov_b32_e32 v198, 0                                      // 00000001FAD4: 7F8C0280
	v_mov_b32_e32 v199, 0                                      // 00000001FAD8: 7F8E0280
	ds_read_b64 v[104:105], v4 offset:12672                    // 00000001FADC: D8EC3180 68000004
	ds_read_b64 v[108:109], v4 offset:12800                    // 00000001FAE4: D8EC3200 6C000004
	s_waitcnt lgkmcnt(0)                                       // 00000001FAEC: BF8CC07F
	v_and_b32_e32 v107, 0xffff0000, v105                       // 00000001FAF0: 26D6D2FF FFFF0000
	v_lshlrev_b32_e32 v106, 16, v105                           // 00000001FAF8: 24D4D290
	v_and_b32_e32 v105, 0xffff0000, v104                       // 00000001FAFC: 26D2D0FF FFFF0000
	v_lshlrev_b32_e32 v104, 16, v104                           // 00000001FB04: 24D0D090
	v_and_b32_e32 v111, 0xffff0000, v109                       // 00000001FB08: 26DEDAFF FFFF0000
	v_lshlrev_b32_e32 v110, 16, v109                           // 00000001FB10: 24DCDA90
	v_and_b32_e32 v109, 0xffff0000, v108                       // 00000001FB14: 26DAD8FF FFFF0000
	v_lshlrev_b32_e32 v108, 16, v108                           // 00000001FB1C: 24D8D890
	v_mov_b32_e32 v48, 0x358637bd                              // 00000001FB20: 7E6002FF 358637BD
	v_max3_f32 v48, |v104|, |v105|, v48                        // 00000001FB28: D1D30330 04C2D368
	v_max3_f32 v48, |v106|, |v107|, v48                        // 00000001FB30: D1D30330 04C2D76A
	v_max3_f32 v48, |v108|, |v109|, v48                        // 00000001FB38: D1D30330 04C2DB6C
	v_max3_f32 v48, |v110|, |v111|, v48                        // 00000001FB40: D1D30330 04C2DF6E
	ds_write_b32 v8, v48 offset:16896                          // 00000001FB48: D81A4200 00003008
	s_waitcnt lgkmcnt(0)                                       // 00000001FB50: BF8CC07F
	s_barrier                                                  // 00000001FB54: BF8A0000
	ds_read_b32 v64, v7 offset:16896                           // 00000001FB58: D86C4200 40000007
	ds_read_b32 v65, v7 offset:16960                           // 00000001FB60: D86C4240 41000007
	ds_read_b32 v66, v7 offset:17024                           // 00000001FB68: D86C4280 42000007
	ds_read_b32 v67, v7 offset:17088                           // 00000001FB70: D86C42C0 43000007
	ds_read_b32 v68, v7 offset:17152                           // 00000001FB78: D86C4300 44000007
	ds_read_b32 v69, v7 offset:17216                           // 00000001FB80: D86C4340 45000007
	ds_read_b32 v70, v7 offset:17280                           // 00000001FB88: D86C4380 46000007
	ds_read_b32 v71, v7 offset:17344                           // 00000001FB90: D86C43C0 47000007
	ds_read_b32 v72, v7 offset:17408                           // 00000001FB98: D86C4400 48000007
	ds_read_b32 v73, v7 offset:17472                           // 00000001FBA0: D86C4440 49000007
	ds_read_b32 v74, v7 offset:17536                           // 00000001FBA8: D86C4480 4A000007
	ds_read_b32 v75, v7 offset:17600                           // 00000001FBB0: D86C44C0 4B000007
	ds_read_b32 v76, v7 offset:17664                           // 00000001FBB8: D86C4500 4C000007
	ds_read_b32 v77, v7 offset:17728                           // 00000001FBC0: D86C4540 4D000007
	ds_read_b32 v78, v7 offset:17792                           // 00000001FBC8: D86C4580 4E000007
	ds_read_b32 v79, v7 offset:17856                           // 00000001FBD0: D86C45C0 4F000007
	s_waitcnt lgkmcnt(0)                                       // 00000001FBD8: BF8CC07F
	v_max3_f32 v48, |v64|, |v65|, v48                          // 00000001FBDC: D1D30330 04C28340
	v_max3_f32 v48, |v66|, |v67|, v48                          // 00000001FBE4: D1D30330 04C28742
	v_max3_f32 v48, |v68|, |v69|, v48                          // 00000001FBEC: D1D30330 04C28B44
	v_max3_f32 v48, |v70|, |v71|, v48                          // 00000001FBF4: D1D30330 04C28F46
	v_max3_f32 v48, |v72|, |v73|, v48                          // 00000001FBFC: D1D30330 04C29348
	v_max3_f32 v48, |v74|, |v75|, v48                          // 00000001FC04: D1D30330 04C2974A
	v_max3_f32 v48, |v76|, |v77|, v48                          // 00000001FC0C: D1D30330 04C29B4C
	v_max3_f32 v48, |v78|, |v79|, v48                          // 00000001FC14: D1D30330 04C29F4E
	v_rcp_f32_e32 v48, v48                                     // 00000001FC1C: 7E604530
	s_nop 1                                                    // 00000001FC20: BF800001
	v_mul_f32_e32 v48, 0x42fe0000, v48                         // 00000001FC24: 0A6060FF 42FE0000
	v_mul_f32_e32 v104, v48, v104                              // 00000001FC2C: 0AD0D130
	v_mul_f32_e32 v105, v48, v105                              // 00000001FC30: 0AD2D330
	v_mul_f32_e32 v106, v48, v106                              // 00000001FC34: 0AD4D530
	v_mul_f32_e32 v107, v48, v107                              // 00000001FC38: 0AD6D730
	v_mul_f32_e32 v108, v48, v108                              // 00000001FC3C: 0AD8D930
	v_mul_f32_e32 v109, v48, v109                              // 00000001FC40: 0ADADB30
	v_mul_f32_e32 v110, v48, v110                              // 00000001FC44: 0ADCDD30
	v_mul_f32_e32 v111, v48, v111                              // 00000001FC48: 0ADEDF30
	v_cvt_i32_f32_e32 v104, v104                               // 00000001FC4C: 7ED01168
	v_cvt_i32_f32_e32 v105, v105                               // 00000001FC50: 7ED21169
	v_cvt_i32_f32_e32 v106, v106                               // 00000001FC54: 7ED4116A
	v_cvt_i32_f32_e32 v107, v107                               // 00000001FC58: 7ED6116B
	v_cvt_i32_f32_e32 v108, v108                               // 00000001FC5C: 7ED8116C
	v_cvt_i32_f32_e32 v109, v109                               // 00000001FC60: 7EDA116D
	v_cvt_i32_f32_e32 v110, v110                               // 00000001FC64: 7EDC116E
	v_cvt_i32_f32_e32 v111, v111                               // 00000001FC68: 7EDE116F
	v_rcp_f32_e32 v21, v48                                     // 00000001FC6C: 7E2A4530
	v_perm_b32 v104, v105, v104, s53                           // 00000001FC70: D1ED0068 00D6D169
	v_perm_b32 v104, v106, v104, s54                           // 00000001FC78: D1ED0068 00DAD16A
	v_perm_b32 v104, v107, v104, s55                           // 00000001FC80: D1ED0068 00DED16B
	v_perm_b32 v105, v109, v108, s53                           // 00000001FC88: D1ED0069 00D6D96D
	v_perm_b32 v105, v110, v105, s54                           // 00000001FC90: D1ED0069 00DAD36E
	v_perm_b32 v105, v111, v105, s55                           // 00000001FC98: D1ED0069 00DED36F
	ds_write_b32 v10, v104 offset:25088                        // 00000001FCA0: D81A6200 0000680A
	ds_write_b32 v10, v105 offset:26112                        // 00000001FCA8: D81A6600 0000690A
	s_waitcnt lgkmcnt(0)                                       // 00000001FCB0: BF8CC07F
	s_barrier                                                  // 00000001FCB4: BF8A0000
	ds_read_b64 v[104:105], v9 offset:25088                    // 00000001FCB8: D8EC6200 68000009
	ds_read_b64 v[106:107], v9 offset:25216                    // 00000001FCC0: D8EC6280 6A000009
	ds_read_b64 v[108:109], v9 offset:26112                    // 00000001FCC8: D8EC6600 6C000009
	ds_read_b64 v[110:111], v9 offset:26240                    // 00000001FCD0: D8EC6680 6E000009
	v_mov_b32_e32 v232, 0                                      // 00000001FCD8: 7FD00280
	v_mov_b32_e32 v233, 0                                      // 00000001FCDC: 7FD20280
	v_mov_b32_e32 v234, 0                                      // 00000001FCE0: 7FD40280
	v_mov_b32_e32 v235, 0                                      // 00000001FCE4: 7FD60280
	v_mov_b32_e32 v236, 0                                      // 00000001FCE8: 7FD80280
	v_mov_b32_e32 v237, 0                                      // 00000001FCEC: 7FDA0280
	v_mov_b32_e32 v238, 0                                      // 00000001FCF0: 7FDC0280
	v_mov_b32_e32 v239, 0                                      // 00000001FCF4: 7FDE0280
	v_mov_b32_e32 v200, 0                                      // 00000001FCF8: 7F900280
	v_mov_b32_e32 v201, 0                                      // 00000001FCFC: 7F920280
	v_mov_b32_e32 v202, 0                                      // 00000001FD00: 7F940280
	v_mov_b32_e32 v203, 0                                      // 00000001FD04: 7F960280
	v_mov_b32_e32 v204, 0                                      // 00000001FD08: 7F980280
	v_mov_b32_e32 v205, 0                                      // 00000001FD0C: 7F9A0280
	v_mov_b32_e32 v206, 0                                      // 00000001FD10: 7F9C0280
	v_mov_b32_e32 v207, 0                                      // 00000001FD14: 7F9E0280
	s_waitcnt vmcnt(8) lgkmcnt(0)                              // 00000001FD18: BF8C0078
	s_barrier                                                  // 00000001FD1C: BF8A0000
	s_cmp_lt_u32 s73, 16                                       // 00000001FD20: BF0A9049
	s_cbranch_scc1 label_A1BD                                  // 00000001FD24: BF852AF3
	s_cmp_lt_i32 s7, 2                                         // 00000001FD28: BF048207
	s_cbranch_scc0 label_8C46                                  // 00000001FD2C: BF84157A

000000000001fd30 <label_76CC>:
	s_waitcnt vmcnt(8) lgkmcnt(0)                              // 00000001FD30: BF8C0078
	v_mul_u32_u24_dpp v64, v17, v54 row_newbcast:0 row_mask:0xf bank_mask:0xf// 00000001FD34: 10806CFA FF015011
	v_mul_u32_u24_dpp v65, v17, v54 row_newbcast:4 row_mask:0xf bank_mask:0xf// 00000001FD3C: 10826CFA FF015411
	v_mul_u32_u24_dpp v66, v17, v54 row_newbcast:8 row_mask:0xf bank_mask:0xf// 00000001FD44: 10846CFA FF015811
	v_mul_u32_u24_dpp v67, v17, v54 row_newbcast:12 row_mask:0xf bank_mask:0xf// 00000001FD4C: 10866CFA FF015C11
	v_add_u32_e32 v26, v64, v5                                 // 00000001FD54: 68340B40
	v_add_u32_e32 v27, v65, v5                                 // 00000001FD58: 68360B41
	v_add_u32_e32 v28, v66, v5                                 // 00000001FD5C: 68380B42
	v_add_u32_e32 v29, v67, v5                                 // 00000001FD60: 683A0B43
	v_mul_u32_u24_dpp v64, v17, v63 quad_perm:[0,0,0,0] row_mask:0xf bank_mask:0xf// 00000001FD64: 10807EFA FF000011
	v_add_u32_e32 v3, v64, v59                                 // 00000001FD6C: 68067740
	v_mul_u32_u24_dpp v64, v17, v63 quad_perm:[0,0,0,0] row_mask:0xf bank_mask:0xf// 00000001FD70: 10807EFA FF000011
	v_add_u32_e32 v56, v64, v60                                // 00000001FD78: 68707940
	v_mfma_i32_16x16x32_i8 v[112:115], a[0:1], v[80:81], 0     // 00000001FD7C: D3D70070 0A02A100
	v_mfma_i32_16x16x32_i8 v[112:115], a[2:3], v[82:83], v[112:115]// 00000001FD84: D3D70070 0DC2A502
	buffer_load_dwordx4 a[32:35], v26, s[16:19], 0 offen       // 00000001FD8C: E05C1000 8084201A
	v_mfma_i32_16x16x32_i8 v[112:115], a[4:5], v[84:85], v[112:115]// 00000001FD94: D3D70070 0DC2A904
	v_mfma_i32_16x16x32_i8 v[112:115], a[6:7], v[86:87], v[112:115]// 00000001FD9C: D3D70070 0DC2AD06
	buffer_load_dword v16, v1, s[24:27], 0 offen               // 00000001FDA4: E0501000 80061001
	v_mfma_i32_16x16x32_i8 v[116:119], a[8:9], v[80:81], 0     // 00000001FDAC: D3D70074 0A02A108
	v_mfma_i32_16x16x32_i8 v[116:119], a[10:11], v[82:83], v[116:119]// 00000001FDB4: D3D70074 0DD2A50A
	buffer_load_dwordx4 a[36:39], v26, s[16:19], 0 offen offset:1024// 00000001FDBC: E05C1400 8084241A
	v_mfma_i32_16x16x32_i8 v[116:119], a[12:13], v[84:85], v[116:119]// 00000001FDC4: D3D70074 0DD2A90C
	v_mfma_i32_16x16x32_i8 v[116:119], a[14:15], v[86:87], v[116:119]// 00000001FDCC: D3D70074 0DD2AD0E
	v_mfma_i32_16x16x32_i8 v[120:123], a[16:17], v[80:81], 0   // 00000001FDD4: D3D70078 0A02A110
	v_mfma_i32_16x16x32_i8 v[120:123], a[18:19], v[82:83], v[120:123]// 00000001FDDC: D3D70078 0DE2A512
	buffer_load_dwordx4 a[40:43], v27, s[16:19], 0 offen       // 00000001FDE4: E05C1000 8084281B
	v_mfma_i32_16x16x32_i8 v[120:123], a[20:21], v[84:85], v[120:123]// 00000001FDEC: D3D70078 0DE2A914
	v_mfma_i32_16x16x32_i8 v[120:123], a[22:23], v[86:87], v[120:123]// 00000001FDF4: D3D70078 0DE2AD16
	v_mfma_i32_16x16x32_i8 v[124:127], a[24:25], v[80:81], 0   // 00000001FDFC: D3D7007C 0A02A118
	v_mfma_i32_16x16x32_i8 v[124:127], a[26:27], v[82:83], v[124:127]// 00000001FE04: D3D7007C 0DF2A51A
	buffer_load_dwordx4 a[44:47], v27, s[16:19], 0 offen offset:1024// 00000001FE0C: E05C1400 80842C1B
	v_mfma_i32_16x16x32_i8 v[124:127], a[28:29], v[84:85], v[124:127]// 00000001FE14: D3D7007C 0DF2A91C
	v_mfma_i32_16x16x32_i8 v[124:127], a[30:31], v[86:87], v[124:127]// 00000001FE1C: D3D7007C 0DF2AD1E
	v_mfma_i32_16x16x32_i8 v[128:131], a[0:1], v[88:89], 0     // 00000001FE24: D3D70080 0A02B100
	v_mfma_i32_16x16x32_i8 v[128:131], a[2:3], v[90:91], v[128:131]// 00000001FE2C: D3D70080 0E02B502
	v_mfma_i32_16x16x32_i8 v[128:131], a[4:5], v[92:93], v[128:131]// 00000001FE34: D3D70080 0E02B904
	v_mfma_i32_16x16x32_i8 v[128:131], a[6:7], v[94:95], v[128:131]// 00000001FE3C: D3D70080 0E02BD06
	v_mfma_i32_16x16x32_i8 v[132:135], a[8:9], v[88:89], 0     // 00000001FE44: D3D70084 0A02B108
	v_mfma_i32_16x16x32_i8 v[132:135], a[10:11], v[90:91], v[132:135]// 00000001FE4C: D3D70084 0E12B50A
	v_mfma_i32_16x16x32_i8 v[132:135], a[12:13], v[92:93], v[132:135]// 00000001FE54: D3D70084 0E12B90C
	v_mfma_i32_16x16x32_i8 v[132:135], a[14:15], v[94:95], v[132:135]// 00000001FE5C: D3D70084 0E12BD0E
	v_mfma_i32_16x16x32_i8 v[136:139], a[16:17], v[88:89], 0   // 00000001FE64: D3D70088 0A02B110
	v_mfma_i32_16x16x32_i8 v[136:139], a[18:19], v[90:91], v[136:139]// 00000001FE6C: D3D70088 0E22B512
	v_mfma_i32_16x16x32_i8 v[136:139], a[20:21], v[92:93], v[136:139]// 00000001FE74: D3D70088 0E22B914
	v_mfma_i32_16x16x32_i8 v[136:139], a[22:23], v[94:95], v[136:139]// 00000001FE7C: D3D70088 0E22BD16
	v_mfma_i32_16x16x32_i8 v[140:143], a[24:25], v[88:89], 0   // 00000001FE84: D3D7008C 0A02B118
	v_mfma_i32_16x16x32_i8 v[140:143], a[26:27], v[90:91], v[140:143]// 00000001FE8C: D3D7008C 0E32B51A
	v_mfma_i32_16x16x32_i8 v[140:143], a[28:29], v[92:93], v[140:143]// 00000001FE94: D3D7008C 0E32B91C
	v_mfma_i32_16x16x32_i8 v[140:143], a[30:31], v[94:95], v[140:143]// 00000001FE9C: D3D7008C 0E32BD1E
	v_mfma_i32_16x16x32_i8 v[144:147], a[0:1], v[96:97], 0     // 00000001FEA4: D3D70090 0A02C100
	v_mfma_i32_16x16x32_i8 v[144:147], a[2:3], v[98:99], v[144:147]// 00000001FEAC: D3D70090 0E42C502
	v_mfma_i32_16x16x32_i8 v[144:147], a[4:5], v[100:101], v[144:147]// 00000001FEB4: D3D70090 0E42C904
	v_mfma_i32_16x16x32_i8 v[144:147], a[6:7], v[102:103], v[144:147]// 00000001FEBC: D3D70090 0E42CD06
	v_mfma_i32_16x16x32_i8 v[148:151], a[8:9], v[96:97], 0     // 00000001FEC4: D3D70094 0A02C108
	v_mfma_i32_16x16x32_i8 v[148:151], a[10:11], v[98:99], v[148:151]// 00000001FECC: D3D70094 0E52C50A
	v_mfma_i32_16x16x32_i8 v[148:151], a[12:13], v[100:101], v[148:151]// 00000001FED4: D3D70094 0E52C90C
	v_mfma_i32_16x16x32_i8 v[148:151], a[14:15], v[102:103], v[148:151]// 00000001FEDC: D3D70094 0E52CD0E
	v_mfma_i32_16x16x32_i8 v[152:155], a[16:17], v[96:97], 0   // 00000001FEE4: D3D70098 0A02C110
	v_mfma_i32_16x16x32_i8 v[152:155], a[18:19], v[98:99], v[152:155]// 00000001FEEC: D3D70098 0E62C512
	v_mfma_i32_16x16x32_i8 v[152:155], a[20:21], v[100:101], v[152:155]// 00000001FEF4: D3D70098 0E62C914
	v_mfma_i32_16x16x32_i8 v[152:155], a[22:23], v[102:103], v[152:155]// 00000001FEFC: D3D70098 0E62CD16
	v_mfma_i32_16x16x32_i8 v[156:159], a[24:25], v[96:97], 0   // 00000001FF04: D3D7009C 0A02C118
	v_mfma_i32_16x16x32_i8 v[156:159], a[26:27], v[98:99], v[156:159]// 00000001FF0C: D3D7009C 0E72C51A
	v_mfma_i32_16x16x32_i8 v[156:159], a[28:29], v[100:101], v[156:159]// 00000001FF14: D3D7009C 0E72C91C
	v_mfma_i32_16x16x32_i8 v[156:159], a[30:31], v[102:103], v[156:159]// 00000001FF1C: D3D7009C 0E72CD1E
	v_mfma_i32_16x16x32_i8 v[160:163], a[0:1], v[104:105], 0   // 00000001FF24: D3D700A0 0A02D100
	v_mfma_i32_16x16x32_i8 v[160:163], a[2:3], v[106:107], v[160:163]// 00000001FF2C: D3D700A0 0E82D502
	v_mfma_i32_16x16x32_i8 v[160:163], a[4:5], v[108:109], v[160:163]// 00000001FF34: D3D700A0 0E82D904
	v_mfma_i32_16x16x32_i8 v[160:163], a[6:7], v[110:111], v[160:163]// 00000001FF3C: D3D700A0 0E82DD06
	v_mfma_i32_16x16x32_i8 v[164:167], a[8:9], v[104:105], 0   // 00000001FF44: D3D700A4 0A02D108
	v_mfma_i32_16x16x32_i8 v[164:167], a[10:11], v[106:107], v[164:167]// 00000001FF4C: D3D700A4 0E92D50A
	v_mfma_i32_16x16x32_i8 v[164:167], a[12:13], v[108:109], v[164:167]// 00000001FF54: D3D700A4 0E92D90C
	v_mfma_i32_16x16x32_i8 v[164:167], a[14:15], v[110:111], v[164:167]// 00000001FF5C: D3D700A4 0E92DD0E
	v_mfma_i32_16x16x32_i8 v[168:171], a[16:17], v[104:105], 0 // 00000001FF64: D3D700A8 0A02D110
	v_mfma_i32_16x16x32_i8 v[168:171], a[18:19], v[106:107], v[168:171]// 00000001FF6C: D3D700A8 0EA2D512
	v_mfma_i32_16x16x32_i8 v[168:171], a[20:21], v[108:109], v[168:171]// 00000001FF74: D3D700A8 0EA2D914
	v_mfma_i32_16x16x32_i8 v[168:171], a[22:23], v[110:111], v[168:171]// 00000001FF7C: D3D700A8 0EA2DD16
	v_mfma_i32_16x16x32_i8 v[172:175], a[24:25], v[104:105], 0 // 00000001FF84: D3D700AC 0A02D118
	v_mfma_i32_16x16x32_i8 v[172:175], a[26:27], v[106:107], v[172:175]// 00000001FF8C: D3D700AC 0EB2D51A
	v_mfma_i32_16x16x32_i8 v[172:175], a[28:29], v[108:109], v[172:175]// 00000001FF94: D3D700AC 0EB2D91C
	v_mfma_i32_16x16x32_i8 v[172:175], a[30:31], v[110:111], v[172:175]// 00000001FF9C: D3D700AC 0EB2DD1E
	buffer_load_dword v43, v3, s[32:35], 0 offen               // 00000001FFA4: E0501000 80082B03
	v_mov_b32_dpp v64, v42 row_shr:4 row_mask:0xf bank_mask:0xf// 00000001FFAC: 7E8002FA FF01142A
	v_mov_b32_dpp v65, v42 row_shl:4 row_mask:0xf bank_mask:0xf// 00000001FFB4: 7E8202FA FF01042A
	v_cndmask_b32_e64 v248, v42, v64, s[44:45]                 // 00000001FFBC: D10000F8 00B2812A
	v_cndmask_b32_e64 v249, v65, v42, s[44:45]                 // 00000001FFC4: D10000F9 00B25541
	v_mov_b32_dpp v64, v248 row_shr:8 row_mask:0xf bank_mask:0xf// 00000001FFCC: 7E8002FA FF0118F8
	v_mov_b32_dpp v65, v248 row_shl:8 row_mask:0xf bank_mask:0xf// 00000001FFD4: 7E8202FA FF0108F8
	v_mov_b32_dpp v66, v249 row_shr:8 row_mask:0xf bank_mask:0xf// 00000001FFDC: 7E8402FA FF0118F9
	v_mov_b32_dpp v67, v249 row_shl:8 row_mask:0xf bank_mask:0xf// 00000001FFE4: 7E8602FA FF0108F9
	v_mov_b32_e32 v68, v248                                    // 00000001FFEC: 7E8803F8
	v_mov_b32_e32 v69, v249                                    // 00000001FFF0: 7E8A03F9
	v_cndmask_b32_e64 v248, v68, v64, s[42:43]                 // 00000001FFF4: D10000F8 00AA8144
	v_cndmask_b32_e64 v250, v68, v65, s[78:79]                 // 00000001FFFC: D10000FA 013A8344
	v_cndmask_b32_e64 v249, v69, v66, s[42:43]                 // 000000020004: D10000F9 00AA8545
	v_cndmask_b32_e64 v251, v69, v67, s[78:79]                 // 00000002000C: D10000FB 013A8745
	v_mov_b32_dpp v64, v57 row_shr:4 row_mask:0xf bank_mask:0xf// 000000020014: 7E8002FA FF011439
	v_mov_b32_dpp v65, v57 row_shl:4 row_mask:0xf bank_mask:0xf// 00000002001C: 7E8202FA FF010439
	v_cndmask_b32_e64 v252, v57, v64, s[44:45]                 // 000000020024: D10000FC 00B28139
	v_cndmask_b32_e64 v253, v65, v57, s[44:45]                 // 00000002002C: D10000FD 00B27341
	v_mov_b32_dpp v64, v252 row_shr:8 row_mask:0xf bank_mask:0xf// 000000020034: 7E8002FA FF0118FC
	v_mov_b32_dpp v65, v252 row_shl:8 row_mask:0xf bank_mask:0xf// 00000002003C: 7E8202FA FF0108FC
	v_mov_b32_dpp v66, v253 row_shr:8 row_mask:0xf bank_mask:0xf// 000000020044: 7E8402FA FF0118FD
	v_mov_b32_dpp v67, v253 row_shl:8 row_mask:0xf bank_mask:0xf// 00000002004C: 7E8602FA FF0108FD
	v_mov_b32_e32 v68, v252                                    // 000000020054: 7E8803FC
	v_mov_b32_e32 v69, v253                                    // 000000020058: 7E8A03FD
	v_cndmask_b32_e64 v252, v68, v64, s[42:43]                 // 00000002005C: D10000FC 00AA8144
	v_cndmask_b32_e64 v254, v68, v65, s[78:79]                 // 000000020064: D10000FE 013A8344
	v_cndmask_b32_e64 v253, v69, v66, s[42:43]                 // 00000002006C: D10000FD 00AA8545
	v_cndmask_b32_e64 v255, v69, v67, s[78:79]                 // 000000020074: D10000FF 013A8745
	buffer_load_dword v58, v56, s[36:39], 0 offen              // 00000002007C: E0501000 80093A38
	v_cvt_f32_i32_e32 v112, v112                               // 000000020084: 7EE00B70
	v_cvt_f32_i32_e32 v113, v113                               // 000000020088: 7EE20B71
	v_cvt_f32_i32_e32 v114, v114                               // 00000002008C: 7EE40B72
	v_cvt_f32_i32_e32 v115, v115                               // 000000020090: 7EE60B73
	v_cvt_f32_i32_e32 v116, v116                               // 000000020094: 7EE80B74
	v_cvt_f32_i32_e32 v117, v117                               // 000000020098: 7EEA0B75
	v_cvt_f32_i32_e32 v118, v118                               // 00000002009C: 7EEC0B76
	v_cvt_f32_i32_e32 v119, v119                               // 0000000200A0: 7EEE0B77
	v_cvt_f32_i32_e32 v120, v120                               // 0000000200A4: 7EF00B78
	v_cvt_f32_i32_e32 v121, v121                               // 0000000200A8: 7EF20B79
	v_cvt_f32_i32_e32 v122, v122                               // 0000000200AC: 7EF40B7A
	v_cvt_f32_i32_e32 v123, v123                               // 0000000200B0: 7EF60B7B
	v_cvt_f32_i32_e32 v124, v124                               // 0000000200B4: 7EF80B7C
	v_cvt_f32_i32_e32 v125, v125                               // 0000000200B8: 7EFA0B7D
	v_cvt_f32_i32_e32 v126, v126                               // 0000000200BC: 7EFC0B7E
	v_cvt_f32_i32_e32 v127, v127                               // 0000000200C0: 7EFE0B7F
	v_mul_f32_e32 v112, v18, v112                              // 0000000200C4: 0AE0E112
	v_mul_f32_e32 v113, v18, v113                              // 0000000200C8: 0AE2E312
	v_mul_f32_e32 v114, v18, v114                              // 0000000200CC: 0AE4E512
	v_mul_f32_e32 v115, v18, v115                              // 0000000200D0: 0AE6E712
	v_mul_f32_e32 v116, v18, v116                              // 0000000200D4: 0AE8E912
	v_mul_f32_e32 v117, v18, v117                              // 0000000200D8: 0AEAEB12
	v_mul_f32_e32 v118, v18, v118                              // 0000000200DC: 0AECED12
	v_mul_f32_e32 v119, v18, v119                              // 0000000200E0: 0AEEEF12
	v_mul_f32_e32 v120, v18, v120                              // 0000000200E4: 0AF0F112
	v_mul_f32_e32 v121, v18, v121                              // 0000000200E8: 0AF2F312
	v_mul_f32_e32 v122, v18, v122                              // 0000000200EC: 0AF4F512
	v_mul_f32_e32 v123, v18, v123                              // 0000000200F0: 0AF6F712
	v_mul_f32_e32 v124, v18, v124                              // 0000000200F4: 0AF8F912
	v_mul_f32_e32 v125, v18, v125                              // 0000000200F8: 0AFAFB12
	v_mul_f32_e32 v126, v18, v126                              // 0000000200FC: 0AFCFD12
	v_mul_f32_e32 v127, v18, v127                              // 000000020100: 0AFEFF12
	buffer_load_dwordx4 a[48:51], v28, s[16:19], 0 offen       // 000000020104: E05C1000 8084301C
	v_mul_f32_dpp v112, v248, v112 quad_perm:[0,0,0,0] row_mask:0xf bank_mask:0xf// 00000002010C: 0AE0E0FA FF0000F8
	v_mul_f32_dpp v113, v248, v113 quad_perm:[1,1,1,1] row_mask:0xf bank_mask:0xf// 000000020114: 0AE2E2FA FF0055F8
	v_mul_f32_dpp v114, v248, v114 quad_perm:[2,2,2,2] row_mask:0xf bank_mask:0xf// 00000002011C: 0AE4E4FA FF00AAF8
	v_mul_f32_dpp v115, v248, v115 quad_perm:[3,3,3,3] row_mask:0xf bank_mask:0xf// 000000020124: 0AE6E6FA FF00FFF8
	v_mul_f32_dpp v116, v249, v116 quad_perm:[0,0,0,0] row_mask:0xf bank_mask:0xf// 00000002012C: 0AE8E8FA FF0000F9
	v_mul_f32_dpp v117, v249, v117 quad_perm:[1,1,1,1] row_mask:0xf bank_mask:0xf// 000000020134: 0AEAEAFA FF0055F9
	v_mul_f32_dpp v118, v249, v118 quad_perm:[2,2,2,2] row_mask:0xf bank_mask:0xf// 00000002013C: 0AECECFA FF00AAF9
	v_mul_f32_dpp v119, v249, v119 quad_perm:[3,3,3,3] row_mask:0xf bank_mask:0xf// 000000020144: 0AEEEEFA FF00FFF9
	v_mul_f32_dpp v120, v250, v120 quad_perm:[0,0,0,0] row_mask:0xf bank_mask:0xf// 00000002014C: 0AF0F0FA FF0000FA
	v_mul_f32_dpp v121, v250, v121 quad_perm:[1,1,1,1] row_mask:0xf bank_mask:0xf// 000000020154: 0AF2F2FA FF0055FA
	v_mul_f32_dpp v122, v250, v122 quad_perm:[2,2,2,2] row_mask:0xf bank_mask:0xf// 00000002015C: 0AF4F4FA FF00AAFA
	v_mul_f32_dpp v123, v250, v123 quad_perm:[3,3,3,3] row_mask:0xf bank_mask:0xf// 000000020164: 0AF6F6FA FF00FFFA
	v_mul_f32_dpp v124, v251, v124 quad_perm:[0,0,0,0] row_mask:0xf bank_mask:0xf// 00000002016C: 0AF8F8FA FF0000FB
	v_mul_f32_dpp v125, v251, v125 quad_perm:[1,1,1,1] row_mask:0xf bank_mask:0xf// 000000020174: 0AFAFAFA FF0055FB
	v_mul_f32_dpp v126, v251, v126 quad_perm:[2,2,2,2] row_mask:0xf bank_mask:0xf// 00000002017C: 0AFCFCFA FF00AAFB
	v_mul_f32_dpp v127, v251, v127 quad_perm:[3,3,3,3] row_mask:0xf bank_mask:0xf// 000000020184: 0AFEFEFA FF00FFFB
	buffer_load_dwordx4 a[52:55], v28, s[16:19], 0 offen offset:1024// 00000002018C: E05C1400 8084341C
	s_cmp_le_i32 s90, s89                                      // 000000020194: BF05595A
	s_cbranch_scc1 label_7858                                  // 000000020198: BF850071
	v_mov_b32_e32 v66, 0xff800000                              // 00000002019C: 7E8402FF FF800000
	s_mov_b32 s60, s90                                         // 0000000201A4: BEBC005A
	s_add_u32 s61, s89, 0xff                                   // 0000000201A8: 803DFF59 000000FF
	v_mov_b32_e32 v64, s61                                     // 0000000201B0: 7E80023D
	v_lshrrev_b32_e32 v240, 4, v0                              // 0000000201B4: 21E00084
	v_mul_i32_i24_e32 v240, 4, v240                            // 0000000201B8: 0DE1E084
	v_add_u32_e32 v240, s60, v240                              // 0000000201BC: 69E1E03C
	s_mov_b32 s61, 0                                           // 0000000201C0: BEBD0080
	s_mul_i32 s60, 16, s7                                      // 0000000201C4: 923C0790
	v_sub_u32_e64 v240, v240, s61                              // 0000000201C8: D13500F0 00007BF0
	v_add_u32_e32 v240, s60, v240                              // 0000000201D0: 69E1E03C
	v_add_u32_e32 v241, 1, v240                                // 0000000201D4: 69E3E081
	v_add_u32_e32 v242, 2, v240                                // 0000000201D8: 69E5E082
	v_add_u32_e32 v243, 3, v240                                // 0000000201DC: 69E7E083
	v_cmp_le_u32_e64 s[40:41], v240, v64                       // 0000000201E0: D0CB0028 000281F0
	v_add_u32_e32 v240, 64, v240                               // 0000000201E8: 69E1E0C0
	s_nop 0                                                    // 0000000201EC: BF800000
	v_cndmask_b32_e64 v112, v66, v112, s[40:41]                // 0000000201F0: D1000070 00A2E142
	v_cmp_le_u32_e64 s[40:41], v241, v64                       // 0000000201F8: D0CB0028 000281F1
	v_add_u32_e32 v241, 64, v241                               // 000000020200: 69E3E2C0
	s_nop 0                                                    // 000000020204: BF800000
	v_cndmask_b32_e64 v113, v66, v113, s[40:41]                // 000000020208: D1000071 00A2E342
	v_cmp_le_u32_e64 s[40:41], v242, v64                       // 000000020210: D0CB0028 000281F2
	v_add_u32_e32 v242, 64, v242                               // 000000020218: 69E5E4C0
	s_nop 0                                                    // 00000002021C: BF800000
	v_cndmask_b32_e64 v114, v66, v114, s[40:41]                // 000000020220: D1000072 00A2E542
	v_cmp_le_u32_e64 s[40:41], v243, v64                       // 000000020228: D0CB0028 000281F3
	v_add_u32_e32 v243, 64, v243                               // 000000020230: 69E7E6C0
	s_nop 0                                                    // 000000020234: BF800000
	v_cndmask_b32_e64 v115, v66, v115, s[40:41]                // 000000020238: D1000073 00A2E742
	v_cmp_le_u32_e64 s[40:41], v240, v64                       // 000000020240: D0CB0028 000281F0
	v_add_u32_e32 v240, 64, v240                               // 000000020248: 69E1E0C0
	s_nop 0                                                    // 00000002024C: BF800000
	v_cndmask_b32_e64 v116, v66, v116, s[40:41]                // 000000020250: D1000074 00A2E942
	v_cmp_le_u32_e64 s[40:41], v241, v64                       // 000000020258: D0CB0028 000281F1
	v_add_u32_e32 v241, 64, v241                               // 000000020260: 69E3E2C0
	s_nop 0                                                    // 000000020264: BF800000
	v_cndmask_b32_e64 v117, v66, v117, s[40:41]                // 000000020268: D1000075 00A2EB42
	v_cmp_le_u32_e64 s[40:41], v242, v64                       // 000000020270: D0CB0028 000281F2
	v_add_u32_e32 v242, 64, v242                               // 000000020278: 69E5E4C0
	s_nop 0                                                    // 00000002027C: BF800000
	v_cndmask_b32_e64 v118, v66, v118, s[40:41]                // 000000020280: D1000076 00A2ED42
	v_cmp_le_u32_e64 s[40:41], v243, v64                       // 000000020288: D0CB0028 000281F3
	v_add_u32_e32 v243, 64, v243                               // 000000020290: 69E7E6C0
	s_nop 0                                                    // 000000020294: BF800000
	v_cndmask_b32_e64 v119, v66, v119, s[40:41]                // 000000020298: D1000077 00A2EF42
	v_cmp_le_u32_e64 s[40:41], v240, v64                       // 0000000202A0: D0CB0028 000281F0
	v_add_u32_e32 v240, 64, v240                               // 0000000202A8: 69E1E0C0
	s_nop 0                                                    // 0000000202AC: BF800000
	v_cndmask_b32_e64 v120, v66, v120, s[40:41]                // 0000000202B0: D1000078 00A2F142
	v_cmp_le_u32_e64 s[40:41], v241, v64                       // 0000000202B8: D0CB0028 000281F1
	v_add_u32_e32 v241, 64, v241                               // 0000000202C0: 69E3E2C0
	s_nop 0                                                    // 0000000202C4: BF800000
	v_cndmask_b32_e64 v121, v66, v121, s[40:41]                // 0000000202C8: D1000079 00A2F342
	v_cmp_le_u32_e64 s[40:41], v242, v64                       // 0000000202D0: D0CB0028 000281F2
	v_add_u32_e32 v242, 64, v242                               // 0000000202D8: 69E5E4C0
	s_nop 0                                                    // 0000000202DC: BF800000
	v_cndmask_b32_e64 v122, v66, v122, s[40:41]                // 0000000202E0: D100007A 00A2F542
	v_cmp_le_u32_e64 s[40:41], v243, v64                       // 0000000202E8: D0CB0028 000281F3
	v_add_u32_e32 v243, 64, v243                               // 0000000202F0: 69E7E6C0
	s_nop 0                                                    // 0000000202F4: BF800000
	v_cndmask_b32_e64 v123, v66, v123, s[40:41]                // 0000000202F8: D100007B 00A2F742
	v_cmp_le_u32_e64 s[40:41], v240, v64                       // 000000020300: D0CB0028 000281F0
	v_add_u32_e32 v240, 64, v240                               // 000000020308: 69E1E0C0
	s_nop 0                                                    // 00000002030C: BF800000
	v_cndmask_b32_e64 v124, v66, v124, s[40:41]                // 000000020310: D100007C 00A2F942
	v_cmp_le_u32_e64 s[40:41], v241, v64                       // 000000020318: D0CB0028 000281F1
	v_add_u32_e32 v241, 64, v241                               // 000000020320: 69E3E2C0
	s_nop 0                                                    // 000000020324: BF800000
	v_cndmask_b32_e64 v125, v66, v125, s[40:41]                // 000000020328: D100007D 00A2FB42
	v_cmp_le_u32_e64 s[40:41], v242, v64                       // 000000020330: D0CB0028 000281F2
	v_add_u32_e32 v242, 64, v242                               // 000000020338: 69E5E4C0
	s_nop 0                                                    // 00000002033C: BF800000
	v_cndmask_b32_e64 v126, v66, v126, s[40:41]                // 000000020340: D100007E 00A2FD42
	v_cmp_le_u32_e64 s[40:41], v243, v64                       // 000000020348: D0CB0028 000281F3
	v_add_u32_e32 v243, 64, v243                               // 000000020350: 69E7E6C0
	s_nop 0                                                    // 000000020354: BF800000
	v_cndmask_b32_e64 v127, v66, v127, s[40:41]                // 000000020358: D100007F 00A2FF42

0000000000020360 <label_7858>:
	v_mov_b32_e32 v48, v112                                    // 000000020360: 7E600370
	v_max3_f32 v48, v112, v113, v48                            // 000000020364: D1D30030 04C2E370
	v_max3_f32 v48, v114, v115, v48                            // 00000002036C: D1D30030 04C2E772
	v_max3_f32 v48, v116, v117, v48                            // 000000020374: D1D30030 04C2EB74
	v_max3_f32 v48, v118, v119, v48                            // 00000002037C: D1D30030 04C2EF76
	v_max3_f32 v48, v120, v121, v48                            // 000000020384: D1D30030 04C2F378
	v_max3_f32 v48, v122, v123, v48                            // 00000002038C: D1D30030 04C2F77A
	v_max3_f32 v48, v124, v125, v48                            // 000000020394: D1D30030 04C2FB7C
	v_max3_f32 v48, v126, v127, v48                            // 00000002039C: D1D30030 04C2FF7E
	ds_write_b32 v8, v48 offset:16896                          // 0000000203A4: D81A4200 00003008
	buffer_load_dwordx4 a[56:59], v29, s[16:19], 0 offen       // 0000000203AC: E05C1000 8084381D
	v_mul_u32_u24_dpp v64, v17, v54 row_newbcast:1 row_mask:0xf bank_mask:0xf// 0000000203B4: 10806CFA FF015111
	v_mul_u32_u24_dpp v65, v17, v54 row_newbcast:5 row_mask:0xf bank_mask:0xf// 0000000203BC: 10826CFA FF015511
	v_mul_u32_u24_dpp v66, v17, v54 row_newbcast:9 row_mask:0xf bank_mask:0xf// 0000000203C4: 10846CFA FF015911
	v_mul_u32_u24_dpp v67, v17, v54 row_newbcast:13 row_mask:0xf bank_mask:0xf// 0000000203CC: 10866CFA FF015D11
	v_add_u32_e32 v34, v64, v6                                 // 0000000203D4: 68440D40
	v_add_u32_e32 v35, v65, v6                                 // 0000000203D8: 68460D41
	v_add_u32_e32 v36, v66, v6                                 // 0000000203DC: 68480D42
	v_add_u32_e32 v37, v67, v6                                 // 0000000203E0: 684A0D43
	v_mul_f32_e32 v208, v49, v208                              // 0000000203E4: 0BA1A131
	v_mul_f32_e32 v209, v49, v209                              // 0000000203E8: 0BA3A331
	v_mul_f32_e32 v210, v49, v210                              // 0000000203EC: 0BA5A531
	v_mul_f32_e32 v211, v49, v211                              // 0000000203F0: 0BA7A731
	v_mul_f32_e32 v212, v49, v212                              // 0000000203F4: 0BA9A931
	v_mul_f32_e32 v213, v49, v213                              // 0000000203F8: 0BABAB31
	v_mul_f32_e32 v214, v49, v214                              // 0000000203FC: 0BADAD31
	v_mul_f32_e32 v215, v49, v215                              // 000000020400: 0BAFAF31
	s_waitcnt lgkmcnt(0)                                       // 000000020404: BF8CC07F
	s_barrier                                                  // 000000020408: BF8A0000
	ds_read_b32 v64, v7 offset:16896                           // 00000002040C: D86C4200 40000007
	ds_read_b32 v65, v7 offset:16960                           // 000000020414: D86C4240 41000007
	ds_read_b32 v66, v7 offset:17024                           // 00000002041C: D86C4280 42000007
	ds_read_b32 v67, v7 offset:17088                           // 000000020424: D86C42C0 43000007
	ds_read_b32 v68, v7 offset:17152                           // 00000002042C: D86C4300 44000007
	ds_read_b32 v69, v7 offset:17216                           // 000000020434: D86C4340 45000007
	ds_read_b32 v70, v7 offset:17280                           // 00000002043C: D86C4380 46000007
	ds_read_b32 v71, v7 offset:17344                           // 000000020444: D86C43C0 47000007
	ds_read_b32 v72, v7 offset:17408                           // 00000002044C: D86C4400 48000007
	ds_read_b32 v73, v7 offset:17472                           // 000000020454: D86C4440 49000007
	ds_read_b32 v74, v7 offset:17536                           // 00000002045C: D86C4480 4A000007
	ds_read_b32 v75, v7 offset:17600                           // 000000020464: D86C44C0 4B000007
	ds_read_b32 v76, v7 offset:17664                           // 00000002046C: D86C4500 4C000007
	ds_read_b32 v77, v7 offset:17728                           // 000000020474: D86C4540 4D000007
	ds_read_b32 v78, v7 offset:17792                           // 00000002047C: D86C4580 4E000007
	ds_read_b32 v79, v7 offset:17856                           // 000000020484: D86C45C0 4F000007
	buffer_load_dwordx4 a[60:63], v29, s[16:19], 0 offen offset:1024// 00000002048C: E05C1400 80843C1D
	v_cvt_f32_i32_e32 v176, v176                               // 000000020494: 7F600BB0
	v_cvt_f32_i32_e32 v177, v177                               // 000000020498: 7F620BB1
	v_cvt_f32_i32_e32 v178, v178                               // 00000002049C: 7F640BB2
	v_cvt_f32_i32_e32 v179, v179                               // 0000000204A0: 7F660BB3
	v_cvt_f32_i32_e32 v180, v180                               // 0000000204A4: 7F680BB4
	v_cvt_f32_i32_e32 v181, v181                               // 0000000204A8: 7F6A0BB5
	v_cvt_f32_i32_e32 v182, v182                               // 0000000204AC: 7F6C0BB6
	v_cvt_f32_i32_e32 v183, v183                               // 0000000204B0: 7F6E0BB7
	v_mul_f32_e32 v176, v44, v176                              // 0000000204B4: 0B61612C
	v_mul_f32_e32 v177, v44, v177                              // 0000000204B8: 0B63632C
	v_mul_f32_e32 v178, v44, v178                              // 0000000204BC: 0B65652C
	v_mul_f32_e32 v179, v44, v179                              // 0000000204C0: 0B67672C
	v_mul_f32_e32 v180, v44, v180                              // 0000000204C4: 0B69692C
	v_mul_f32_e32 v181, v44, v181                              // 0000000204C8: 0B6B6B2C
	v_mul_f32_e32 v182, v44, v182                              // 0000000204CC: 0B6D6D2C
	v_mul_f32_e32 v183, v44, v183                              // 0000000204D0: 0B6F6F2C
	s_waitcnt lgkmcnt(0)                                       // 0000000204D4: BF8CC07F
	v_max3_f32 v48, v64, v65, v48                              // 0000000204D8: D1D30030 04C28340
	v_max3_f32 v48, v66, v67, v48                              // 0000000204E0: D1D30030 04C28742
	v_max3_f32 v48, v68, v69, v48                              // 0000000204E8: D1D30030 04C28B44
	v_max3_f32 v48, v70, v71, v48                              // 0000000204F0: D1D30030 04C28F46
	v_max3_f32 v48, v72, v73, v48                              // 0000000204F8: D1D30030 04C29348
	v_max3_f32 v48, v74, v75, v48                              // 000000020500: D1D30030 04C2974A
	v_max3_f32 v48, v76, v77, v48                              // 000000020508: D1D30030 04C29B4C
	v_max3_f32 v48, v78, v79, v48                              // 000000020510: D1D30030 04C29F4E
	buffer_load_dwordx4 a[96:99], v34, s[20:23], 0 offen       // 000000020518: E05C1000 80856022
	v_mov_b32_e32 v64, 0xff800000                              // 000000020520: 7E8002FF FF800000
	v_cmp_eq_u32_e64 s[40:41], v64, v11                        // 000000020528: D0CA0028 00021740
	s_nop 1                                                    // 000000020530: BF800001
	v_max_f32_e32 v15, v48, v11                                // 000000020534: 161E1730
	v_mul_f32_e32 v53, s64, v15                                // 000000020538: 0A6A1E40
	v_fma_f32 v112, v112, s64, -v53                            // 00000002053C: D1CB0070 84D48170
	v_fma_f32 v113, v113, s64, -v53                            // 000000020544: D1CB0071 84D48171
	v_fma_f32 v114, v114, s64, -v53                            // 00000002054C: D1CB0072 84D48172
	v_fma_f32 v115, v115, s64, -v53                            // 000000020554: D1CB0073 84D48173
	v_fma_f32 v116, v116, s64, -v53                            // 00000002055C: D1CB0074 84D48174
	v_fma_f32 v117, v117, s64, -v53                            // 000000020564: D1CB0075 84D48175
	v_fma_f32 v118, v118, s64, -v53                            // 00000002056C: D1CB0076 84D48176
	v_fma_f32 v119, v119, s64, -v53                            // 000000020574: D1CB0077 84D48177
	v_fma_f32 v120, v120, s64, -v53                            // 00000002057C: D1CB0078 84D48178
	v_fma_f32 v121, v121, s64, -v53                            // 000000020584: D1CB0079 84D48179
	v_fma_f32 v122, v122, s64, -v53                            // 00000002058C: D1CB007A 84D4817A
	v_fma_f32 v123, v123, s64, -v53                            // 000000020594: D1CB007B 84D4817B
	v_fma_f32 v124, v124, s64, -v53                            // 00000002059C: D1CB007C 84D4817C
	v_fma_f32 v125, v125, s64, -v53                            // 0000000205A4: D1CB007D 84D4817D
	v_fma_f32 v126, v126, s64, -v53                            // 0000000205AC: D1CB007E 84D4817E
	v_fma_f32 v127, v127, s64, -v53                            // 0000000205B4: D1CB007F 84D4817F
	buffer_load_dwordx4 a[100:103], v35, s[20:23], 0 offen     // 0000000205BC: E05C1000 80856423
	v_exp_f32_e32 v112, v112                                   // 0000000205C4: 7EE04170
	v_exp_f32_e32 v113, v113                                   // 0000000205C8: 7EE24171
	v_exp_f32_e32 v114, v114                                   // 0000000205CC: 7EE44172
	v_exp_f32_e32 v115, v115                                   // 0000000205D0: 7EE64173
	v_exp_f32_e32 v116, v116                                   // 0000000205D4: 7EE84174
	v_exp_f32_e32 v117, v117                                   // 0000000205D8: 7EEA4175
	v_exp_f32_e32 v118, v118                                   // 0000000205DC: 7EEC4176
	v_exp_f32_e32 v119, v119                                   // 0000000205E0: 7EEE4177
	v_exp_f32_e32 v120, v120                                   // 0000000205E4: 7EF04178
	v_exp_f32_e32 v121, v121                                   // 0000000205E8: 7EF24179
	v_exp_f32_e32 v122, v122                                   // 0000000205EC: 7EF4417A
	v_exp_f32_e32 v123, v123                                   // 0000000205F0: 7EF6417B
	v_exp_f32_e32 v124, v124                                   // 0000000205F4: 7EF8417C
	v_exp_f32_e32 v125, v125                                   // 0000000205F8: 7EFA417D
	v_exp_f32_e32 v126, v126                                   // 0000000205FC: 7EFC417E
	v_exp_f32_e32 v127, v127                                   // 000000020600: 7EFE417F
	buffer_load_dwordx4 a[104:107], v36, s[20:23], 0 offen     // 000000020604: E05C1000 80856824
	v_mul_f32_dpp v240, v252, v112 quad_perm:[0,0,0,0] row_mask:0xf bank_mask:0xf// 00000002060C: 0BE0E0FA FF0000FC
	v_mul_f32_dpp v241, v252, v113 quad_perm:[1,1,1,1] row_mask:0xf bank_mask:0xf// 000000020614: 0BE2E2FA FF0055FC
	v_mul_f32_dpp v242, v252, v114 quad_perm:[2,2,2,2] row_mask:0xf bank_mask:0xf// 00000002061C: 0BE4E4FA FF00AAFC
	v_mul_f32_dpp v243, v252, v115 quad_perm:[3,3,3,3] row_mask:0xf bank_mask:0xf// 000000020624: 0BE6E6FA FF00FFFC
	v_mul_f32_dpp v244, v253, v116 quad_perm:[0,0,0,0] row_mask:0xf bank_mask:0xf// 00000002062C: 0BE8E8FA FF0000FD
	v_mul_f32_dpp v245, v253, v117 quad_perm:[1,1,1,1] row_mask:0xf bank_mask:0xf// 000000020634: 0BEAEAFA FF0055FD
	v_mul_f32_dpp v246, v253, v118 quad_perm:[2,2,2,2] row_mask:0xf bank_mask:0xf// 00000002063C: 0BECECFA FF00AAFD
	v_mul_f32_dpp v247, v253, v119 quad_perm:[3,3,3,3] row_mask:0xf bank_mask:0xf// 000000020644: 0BEEEEFA FF00FFFD
	v_mul_f32_dpp v248, v254, v120 quad_perm:[0,0,0,0] row_mask:0xf bank_mask:0xf// 00000002064C: 0BF0F0FA FF0000FE
	v_mul_f32_dpp v249, v254, v121 quad_perm:[1,1,1,1] row_mask:0xf bank_mask:0xf// 000000020654: 0BF2F2FA FF0055FE
	v_mul_f32_dpp v250, v254, v122 quad_perm:[2,2,2,2] row_mask:0xf bank_mask:0xf// 00000002065C: 0BF4F4FA FF00AAFE
	v_mul_f32_dpp v251, v254, v123 quad_perm:[3,3,3,3] row_mask:0xf bank_mask:0xf// 000000020664: 0BF6F6FA FF00FFFE
	v_mul_f32_dpp v252, v255, v124 quad_perm:[0,0,0,0] row_mask:0xf bank_mask:0xf// 00000002066C: 0BF8F8FA FF0000FF
	v_mul_f32_dpp v253, v255, v125 quad_perm:[1,1,1,1] row_mask:0xf bank_mask:0xf// 000000020674: 0BFAFAFA FF0055FF
	v_mul_f32_dpp v254, v255, v126 quad_perm:[2,2,2,2] row_mask:0xf bank_mask:0xf// 00000002067C: 0BFCFCFA FF00AAFF
	v_mul_f32_dpp v255, v255, v127 quad_perm:[3,3,3,3] row_mask:0xf bank_mask:0xf// 000000020684: 0BFEFEFA FF00FFFF
	v_mov_b32_e32 v48, 0x358637bd                              // 00000002068C: 7E6002FF 358637BD
	v_max3_f32 v48, |v240|, |v241|, v48                        // 000000020694: D1D30330 04C3E3F0
	v_max3_f32 v48, |v242|, |v243|, v48                        // 00000002069C: D1D30330 04C3E7F2
	v_max3_f32 v48, |v244|, |v245|, v48                        // 0000000206A4: D1D30330 04C3EBF4
	v_max3_f32 v48, |v246|, |v247|, v48                        // 0000000206AC: D1D30330 04C3EFF6
	v_max3_f32 v48, |v248|, |v249|, v48                        // 0000000206B4: D1D30330 04C3F3F8
	v_max3_f32 v48, |v250|, |v251|, v48                        // 0000000206BC: D1D30330 04C3F7FA
	v_max3_f32 v48, |v252|, |v253|, v48                        // 0000000206C4: D1D30330 04C3FBFC
	v_max3_f32 v48, |v254|, |v255|, v48                        // 0000000206CC: D1D30330 04C3FFFE
	buffer_load_dwordx4 a[108:111], v37, s[20:23], 0 offen     // 0000000206D4: E05C1000 80856C25
	ds_write_b32 v8, v48 offset:20992                          // 0000000206DC: D81A5200 00003008
	v_sub_f32_e32 v49, v11, v15                                // 0000000206E4: 04621F0B
	v_cndmask_b32_e64 v49, v49, 0, s[40:41]                    // 0000000206E8: D1000031 00A10131
	v_mov_b32_e32 v11, v15                                     // 0000000206F0: 7E16030F
	v_mul_f32_e32 v49, s64, v49                                // 0000000206F4: 0A626240
	v_exp_f32_e32 v49, v49                                     // 0000000206F8: 7E624131
	s_waitcnt lgkmcnt(0)                                       // 0000000206FC: BF8CC07F
	s_barrier                                                  // 000000020700: BF8A0000
	ds_read_b32 v64, v7 offset:20992                           // 000000020704: D86C5200 40000007
	ds_read_b32 v65, v7 offset:21056                           // 00000002070C: D86C5240 41000007
	ds_read_b32 v66, v7 offset:21120                           // 000000020714: D86C5280 42000007
	ds_read_b32 v67, v7 offset:21184                           // 00000002071C: D86C52C0 43000007
	ds_read_b32 v68, v7 offset:21248                           // 000000020724: D86C5300 44000007
	ds_read_b32 v69, v7 offset:21312                           // 00000002072C: D86C5340 45000007
	ds_read_b32 v70, v7 offset:21376                           // 000000020734: D86C5380 46000007
	ds_read_b32 v71, v7 offset:21440                           // 00000002073C: D86C53C0 47000007
	ds_read_b32 v72, v7 offset:21504                           // 000000020744: D86C5400 48000007
	ds_read_b32 v73, v7 offset:21568                           // 00000002074C: D86C5440 49000007
	ds_read_b32 v74, v7 offset:21632                           // 000000020754: D86C5480 4A000007
	ds_read_b32 v75, v7 offset:21696                           // 00000002075C: D86C54C0 4B000007
	ds_read_b32 v76, v7 offset:21760                           // 000000020764: D86C5500 4C000007
	ds_read_b32 v77, v7 offset:21824                           // 00000002076C: D86C5540 4D000007
	ds_read_b32 v78, v7 offset:21888                           // 000000020774: D86C5580 4E000007
	ds_read_b32 v79, v7 offset:21952                           // 00000002077C: D86C55C0 4F000007
	v_mul_f32_e32 v38, v49, v38                                // 000000020784: 0A4C4D31
	v_mov_b32_e32 v15, v112                                    // 000000020788: 7E1E0370
	v_add_f32_e32 v15, v113, v15                               // 00000002078C: 021E1F71
	v_add_f32_e32 v15, v114, v15                               // 000000020790: 021E1F72
	v_add_f32_e32 v15, v115, v15                               // 000000020794: 021E1F73
	v_add_f32_e32 v15, v116, v15                               // 000000020798: 021E1F74
	v_add_f32_e32 v15, v117, v15                               // 00000002079C: 021E1F75
	v_add_f32_e32 v15, v118, v15                               // 0000000207A0: 021E1F76
	v_add_f32_e32 v15, v119, v15                               // 0000000207A4: 021E1F77
	v_add_f32_e32 v15, v120, v15                               // 0000000207A8: 021E1F78
	v_add_f32_e32 v15, v121, v15                               // 0000000207AC: 021E1F79
	v_add_f32_e32 v15, v122, v15                               // 0000000207B0: 021E1F7A
	v_add_f32_e32 v15, v123, v15                               // 0000000207B4: 021E1F7B
	v_add_f32_e32 v15, v124, v15                               // 0000000207B8: 021E1F7C
	v_add_f32_e32 v15, v125, v15                               // 0000000207BC: 021E1F7D
	v_add_f32_e32 v15, v126, v15                               // 0000000207C0: 021E1F7E
	v_add_f32_e32 v15, v127, v15                               // 0000000207C4: 021E1F7F
	v_add_f32_e32 v38, v15, v38                                // 0000000207C8: 024C4D0F
	s_waitcnt lgkmcnt(0)                                       // 0000000207CC: BF8CC07F
	v_max3_f32 v48, |v64|, |v65|, v48                          // 0000000207D0: D1D30330 04C28340
	v_max3_f32 v48, |v66|, |v67|, v48                          // 0000000207D8: D1D30330 04C28742
	v_max3_f32 v48, |v68|, |v69|, v48                          // 0000000207E0: D1D30330 04C28B44
	v_max3_f32 v48, |v70|, |v71|, v48                          // 0000000207E8: D1D30330 04C28F46
	v_max3_f32 v48, |v72|, |v73|, v48                          // 0000000207F0: D1D30330 04C29348
	v_max3_f32 v48, |v74|, |v75|, v48                          // 0000000207F8: D1D30330 04C2974A
	v_max3_f32 v48, |v76|, |v77|, v48                          // 000000020800: D1D30330 04C29B4C
	v_max3_f32 v48, |v78|, |v79|, v48                          // 000000020808: D1D30330 04C29F4E
	s_nop 2                                                    // 000000020810: BF800002
	v_rcp_f32_e32 v48, v48                                     // 000000020814: 7E604530
	s_nop 1                                                    // 000000020818: BF800001
	v_mul_f32_e32 v48, 0x42fe0000, v48                         // 00000002081C: 0A6060FF 42FE0000
	v_mul_f32_e32 v112, v48, v240                              // 000000020824: 0AE1E130
	v_mul_f32_e32 v113, v48, v241                              // 000000020828: 0AE3E330
	v_mul_f32_e32 v114, v48, v242                              // 00000002082C: 0AE5E530
	v_mul_f32_e32 v115, v48, v243                              // 000000020830: 0AE7E730
	v_mul_f32_e32 v116, v48, v244                              // 000000020834: 0AE9E930
	v_mul_f32_e32 v117, v48, v245                              // 000000020838: 0AEBEB30
	v_mul_f32_e32 v118, v48, v246                              // 00000002083C: 0AEDED30
	v_mul_f32_e32 v119, v48, v247                              // 000000020840: 0AEFEF30
	v_mul_f32_e32 v120, v48, v248                              // 000000020844: 0AF1F130
	v_mul_f32_e32 v121, v48, v249                              // 000000020848: 0AF3F330
	v_mul_f32_e32 v122, v48, v250                              // 00000002084C: 0AF5F530
	v_mul_f32_e32 v123, v48, v251                              // 000000020850: 0AF7F730
	v_mul_f32_e32 v124, v48, v252                              // 000000020854: 0AF9F930
	v_mul_f32_e32 v125, v48, v253                              // 000000020858: 0AFBFB30
	v_mul_f32_e32 v126, v48, v254                              // 00000002085C: 0AFDFD30
	v_mul_f32_e32 v127, v48, v255                              // 000000020860: 0AFFFF30
	v_cvt_i32_f32_e32 v112, v112                               // 000000020864: 7EE01170
	v_cvt_i32_f32_e32 v113, v113                               // 000000020868: 7EE21171
	v_cvt_i32_f32_e32 v114, v114                               // 00000002086C: 7EE41172
	v_cvt_i32_f32_e32 v115, v115                               // 000000020870: 7EE61173
	v_cvt_i32_f32_e32 v116, v116                               // 000000020874: 7EE81174
	v_cvt_i32_f32_e32 v117, v117                               // 000000020878: 7EEA1175
	v_cvt_i32_f32_e32 v118, v118                               // 00000002087C: 7EEC1176
	v_cvt_i32_f32_e32 v119, v119                               // 000000020880: 7EEE1177
	v_cvt_i32_f32_e32 v120, v120                               // 000000020884: 7EF01178
	v_cvt_i32_f32_e32 v121, v121                               // 000000020888: 7EF21179
	v_cvt_i32_f32_e32 v122, v122                               // 00000002088C: 7EF4117A
	v_cvt_i32_f32_e32 v123, v123                               // 000000020890: 7EF6117B
	v_cvt_i32_f32_e32 v124, v124                               // 000000020894: 7EF8117C
	v_cvt_i32_f32_e32 v125, v125                               // 000000020898: 7EFA117D
	v_cvt_i32_f32_e32 v126, v126                               // 00000002089C: 7EFC117E
	v_cvt_i32_f32_e32 v127, v127                               // 0000000208A0: 7EFE117F
	v_perm_b32 v112, v113, v112, s53                           // 0000000208A4: D1ED0070 00D6E171
	v_perm_b32 v112, v114, v112, s54                           // 0000000208AC: D1ED0070 00DAE172
	v_perm_b32 v112, v115, v112, s55                           // 0000000208B4: D1ED0070 00DEE173
	v_perm_b32 v113, v117, v116, s53                           // 0000000208BC: D1ED0071 00D6E975
	v_perm_b32 v113, v118, v113, s54                           // 0000000208C4: D1ED0071 00DAE376
	v_perm_b32 v113, v119, v113, s55                           // 0000000208CC: D1ED0071 00DEE377
	v_perm_b32 v114, v121, v120, s53                           // 0000000208D4: D1ED0072 00D6F179
	v_perm_b32 v114, v122, v114, s54                           // 0000000208DC: D1ED0072 00DAE57A
	v_perm_b32 v114, v123, v114, s55                           // 0000000208E4: D1ED0072 00DEE57B
	v_perm_b32 v115, v125, v124, s53                           // 0000000208EC: D1ED0073 00D6F97D
	v_perm_b32 v115, v126, v115, s54                           // 0000000208F4: D1ED0073 00DAE77E
	v_perm_b32 v115, v127, v115, s55                           // 0000000208FC: D1ED0073 00DEE77F
	ds_write_b32 v10, v112 offset:25088                        // 000000020904: D81A6200 0000700A
	ds_write_b32 v10, v113 offset:26112                        // 00000002090C: D81A6600 0000710A
	ds_write_b32 v10, v114 offset:27136                        // 000000020914: D81A6A00 0000720A
	ds_write_b32 v10, v115 offset:28160                        // 00000002091C: D81A6E00 0000730A
	v_add_f32_e32 v208, v208, v176                             // 000000020924: 03A161D0
	v_add_f32_e32 v209, v209, v177                             // 000000020928: 03A363D1
	v_add_f32_e32 v210, v210, v178                             // 00000002092C: 03A565D2
	v_add_f32_e32 v211, v211, v179                             // 000000020930: 03A767D3
	v_add_f32_e32 v212, v212, v180                             // 000000020934: 03A969D4
	v_add_f32_e32 v213, v213, v181                             // 000000020938: 03AB6BD5
	v_add_f32_e32 v214, v214, v182                             // 00000002093C: 03AD6DD6
	v_add_f32_e32 v215, v215, v183                             // 000000020940: 03AF6FD7
	v_rcp_f32_e32 v44, v48                                     // 000000020944: 7E584530
	s_waitcnt lgkmcnt(0)                                       // 000000020948: BF8CC07F
	s_barrier                                                  // 00000002094C: BF8A0000
	ds_read_b64 v[112:113], v9 offset:25088                    // 000000020950: D8EC6200 70000009
	ds_read_b64 v[114:115], v9 offset:25216                    // 000000020958: D8EC6280 72000009
	ds_read_b64 v[116:117], v9 offset:26112                    // 000000020960: D8EC6600 74000009
	ds_read_b64 v[118:119], v9 offset:26240                    // 000000020968: D8EC6680 76000009
	ds_read_b64 v[120:121], v9 offset:27136                    // 000000020970: D8EC6A00 78000009
	ds_read_b64 v[122:123], v9 offset:27264                    // 000000020978: D8EC6A80 7A000009
	ds_read_b64 v[124:125], v9 offset:28160                    // 000000020980: D8EC6E00 7C000009
	ds_read_b64 v[126:127], v9 offset:28288                    // 000000020988: D8EC6E80 7E000009
	v_mov_b32_dpp v64, v42 row_shr:4 row_mask:0xf bank_mask:0xf// 000000020990: 7E8002FA FF01142A
	v_mov_b32_dpp v65, v42 row_shl:4 row_mask:0xf bank_mask:0xf// 000000020998: 7E8202FA FF01042A
	v_cndmask_b32_e64 v248, v42, v64, s[44:45]                 // 0000000209A0: D10000F8 00B2812A
	v_cndmask_b32_e64 v249, v65, v42, s[44:45]                 // 0000000209A8: D10000F9 00B25541
	v_mov_b32_dpp v64, v248 row_shr:8 row_mask:0xf bank_mask:0xf// 0000000209B0: 7E8002FA FF0118F8
	v_mov_b32_dpp v65, v248 row_shl:8 row_mask:0xf bank_mask:0xf// 0000000209B8: 7E8202FA FF0108F8
	v_mov_b32_dpp v66, v249 row_shr:8 row_mask:0xf bank_mask:0xf// 0000000209C0: 7E8402FA FF0118F9
	v_mov_b32_dpp v67, v249 row_shl:8 row_mask:0xf bank_mask:0xf// 0000000209C8: 7E8602FA FF0108F9
	v_mov_b32_e32 v68, v248                                    // 0000000209D0: 7E8803F8
	v_mov_b32_e32 v69, v249                                    // 0000000209D4: 7E8A03F9
	v_cndmask_b32_e64 v248, v68, v64, s[42:43]                 // 0000000209D8: D10000F8 00AA8144
	v_cndmask_b32_e64 v250, v68, v65, s[78:79]                 // 0000000209E0: D10000FA 013A8344
	v_cndmask_b32_e64 v249, v69, v66, s[42:43]                 // 0000000209E8: D10000F9 00AA8545
	v_cndmask_b32_e64 v251, v69, v67, s[78:79]                 // 0000000209F0: D10000FB 013A8745
	v_mov_b32_dpp v64, v57 row_shr:4 row_mask:0xf bank_mask:0xf// 0000000209F8: 7E8002FA FF011439
	v_mov_b32_dpp v65, v57 row_shl:4 row_mask:0xf bank_mask:0xf// 000000020A00: 7E8202FA FF010439
	v_cndmask_b32_e64 v252, v57, v64, s[44:45]                 // 000000020A08: D10000FC 00B28139
	v_cndmask_b32_e64 v253, v65, v57, s[44:45]                 // 000000020A10: D10000FD 00B27341
	v_mov_b32_dpp v64, v252 row_shr:8 row_mask:0xf bank_mask:0xf// 000000020A18: 7E8002FA FF0118FC
	v_mov_b32_dpp v65, v252 row_shl:8 row_mask:0xf bank_mask:0xf// 000000020A20: 7E8202FA FF0108FC
	v_mov_b32_dpp v66, v253 row_shr:8 row_mask:0xf bank_mask:0xf// 000000020A28: 7E8402FA FF0118FD
	v_mov_b32_dpp v67, v253 row_shl:8 row_mask:0xf bank_mask:0xf// 000000020A30: 7E8602FA FF0108FD
	v_mov_b32_e32 v68, v252                                    // 000000020A38: 7E8803FC
	v_mov_b32_e32 v69, v253                                    // 000000020A3C: 7E8A03FD
	v_cndmask_b32_e64 v252, v68, v64, s[42:43]                 // 000000020A40: D10000FC 00AA8144
	v_cndmask_b32_e64 v254, v68, v65, s[78:79]                 // 000000020A48: D10000FE 013A8344
	v_cndmask_b32_e64 v253, v69, v66, s[42:43]                 // 000000020A50: D10000FD 00AA8545
	v_cndmask_b32_e64 v255, v69, v67, s[78:79]                 // 000000020A58: D10000FF 013A8745
	v_cvt_f32_i32_e32 v128, v128                               // 000000020A60: 7F000B80
	v_cvt_f32_i32_e32 v129, v129                               // 000000020A64: 7F020B81
	v_cvt_f32_i32_e32 v130, v130                               // 000000020A68: 7F040B82
	v_cvt_f32_i32_e32 v131, v131                               // 000000020A6C: 7F060B83
	v_cvt_f32_i32_e32 v132, v132                               // 000000020A70: 7F080B84
	v_cvt_f32_i32_e32 v133, v133                               // 000000020A74: 7F0A0B85
	v_cvt_f32_i32_e32 v134, v134                               // 000000020A78: 7F0C0B86
	v_cvt_f32_i32_e32 v135, v135                               // 000000020A7C: 7F0E0B87
	v_cvt_f32_i32_e32 v136, v136                               // 000000020A80: 7F100B88
	v_cvt_f32_i32_e32 v137, v137                               // 000000020A84: 7F120B89
	v_cvt_f32_i32_e32 v138, v138                               // 000000020A88: 7F140B8A
	v_cvt_f32_i32_e32 v139, v139                               // 000000020A8C: 7F160B8B
	v_cvt_f32_i32_e32 v140, v140                               // 000000020A90: 7F180B8C
	v_cvt_f32_i32_e32 v141, v141                               // 000000020A94: 7F1A0B8D
	v_cvt_f32_i32_e32 v142, v142                               // 000000020A98: 7F1C0B8E
	v_cvt_f32_i32_e32 v143, v143                               // 000000020A9C: 7F1E0B8F
	v_mul_f32_e32 v128, v19, v128                              // 000000020AA0: 0B010113
	v_mul_f32_e32 v129, v19, v129                              // 000000020AA4: 0B030313
	v_mul_f32_e32 v130, v19, v130                              // 000000020AA8: 0B050513
	v_mul_f32_e32 v131, v19, v131                              // 000000020AAC: 0B070713
	v_mul_f32_e32 v132, v19, v132                              // 000000020AB0: 0B090913
	v_mul_f32_e32 v133, v19, v133                              // 000000020AB4: 0B0B0B13
	v_mul_f32_e32 v134, v19, v134                              // 000000020AB8: 0B0D0D13
	v_mul_f32_e32 v135, v19, v135                              // 000000020ABC: 0B0F0F13
	v_mul_f32_e32 v136, v19, v136                              // 000000020AC0: 0B111113
	v_mul_f32_e32 v137, v19, v137                              // 000000020AC4: 0B131313
	v_mul_f32_e32 v138, v19, v138                              // 000000020AC8: 0B151513
	v_mul_f32_e32 v139, v19, v139                              // 000000020ACC: 0B171713
	v_mul_f32_e32 v140, v19, v140                              // 000000020AD0: 0B191913
	v_mul_f32_e32 v141, v19, v141                              // 000000020AD4: 0B1B1B13
	v_mul_f32_e32 v142, v19, v142                              // 000000020AD8: 0B1D1D13
	v_mul_f32_e32 v143, v19, v143                              // 000000020ADC: 0B1F1F13
	v_mul_f32_dpp v128, v248, v128 quad_perm:[0,0,0,0] row_mask:0xf bank_mask:0xf// 000000020AE0: 0B0100FA FF0000F8
	v_mul_f32_dpp v129, v248, v129 quad_perm:[1,1,1,1] row_mask:0xf bank_mask:0xf// 000000020AE8: 0B0302FA FF0055F8
	v_mul_f32_dpp v130, v248, v130 quad_perm:[2,2,2,2] row_mask:0xf bank_mask:0xf// 000000020AF0: 0B0504FA FF00AAF8
	v_mul_f32_dpp v131, v248, v131 quad_perm:[3,3,3,3] row_mask:0xf bank_mask:0xf// 000000020AF8: 0B0706FA FF00FFF8
	v_mul_f32_dpp v132, v249, v132 quad_perm:[0,0,0,0] row_mask:0xf bank_mask:0xf// 000000020B00: 0B0908FA FF0000F9
	v_mul_f32_dpp v133, v249, v133 quad_perm:[1,1,1,1] row_mask:0xf bank_mask:0xf// 000000020B08: 0B0B0AFA FF0055F9
	v_mul_f32_dpp v134, v249, v134 quad_perm:[2,2,2,2] row_mask:0xf bank_mask:0xf// 000000020B10: 0B0D0CFA FF00AAF9
	v_mul_f32_dpp v135, v249, v135 quad_perm:[3,3,3,3] row_mask:0xf bank_mask:0xf// 000000020B18: 0B0F0EFA FF00FFF9
	v_mul_f32_dpp v136, v250, v136 quad_perm:[0,0,0,0] row_mask:0xf bank_mask:0xf// 000000020B20: 0B1110FA FF0000FA
	v_mul_f32_dpp v137, v250, v137 quad_perm:[1,1,1,1] row_mask:0xf bank_mask:0xf// 000000020B28: 0B1312FA FF0055FA
	v_mul_f32_dpp v138, v250, v138 quad_perm:[2,2,2,2] row_mask:0xf bank_mask:0xf// 000000020B30: 0B1514FA FF00AAFA
	v_mul_f32_dpp v139, v250, v139 quad_perm:[3,3,3,3] row_mask:0xf bank_mask:0xf// 000000020B38: 0B1716FA FF00FFFA
	v_mul_f32_dpp v140, v251, v140 quad_perm:[0,0,0,0] row_mask:0xf bank_mask:0xf// 000000020B40: 0B1918FA FF0000FB
	v_mul_f32_dpp v141, v251, v141 quad_perm:[1,1,1,1] row_mask:0xf bank_mask:0xf// 000000020B48: 0B1B1AFA FF0055FB
	v_mul_f32_dpp v142, v251, v142 quad_perm:[2,2,2,2] row_mask:0xf bank_mask:0xf// 000000020B50: 0B1D1CFA FF00AAFB
	v_mul_f32_dpp v143, v251, v143 quad_perm:[3,3,3,3] row_mask:0xf bank_mask:0xf// 000000020B58: 0B1F1EFA FF00FFFB
	s_cmp_le_i32 s90, s89                                      // 000000020B60: BF05595A
	s_cbranch_scc1 label_7ACB                                  // 000000020B64: BF850071
	v_mov_b32_e32 v66, 0xff800000                              // 000000020B68: 7E8402FF FF800000
	s_mov_b32 s60, s90                                         // 000000020B70: BEBC005A
	s_add_u32 s61, s89, 0xff                                   // 000000020B74: 803DFF59 000000FF
	v_mov_b32_e32 v64, s61                                     // 000000020B7C: 7E80023D
	v_lshrrev_b32_e32 v240, 4, v0                              // 000000020B80: 21E00084
	v_mul_i32_i24_e32 v240, 4, v240                            // 000000020B84: 0DE1E084
	v_add_u32_e32 v240, s60, v240                              // 000000020B88: 69E1E03C
	s_mov_b32 s61, 1                                           // 000000020B8C: BEBD0081
	s_mul_i32 s60, 16, s7                                      // 000000020B90: 923C0790
	v_sub_u32_e64 v240, v240, s61                              // 000000020B94: D13500F0 00007BF0
	v_add_u32_e32 v240, s60, v240                              // 000000020B9C: 69E1E03C
	v_add_u32_e32 v241, 1, v240                                // 000000020BA0: 69E3E081
	v_add_u32_e32 v242, 2, v240                                // 000000020BA4: 69E5E082
	v_add_u32_e32 v243, 3, v240                                // 000000020BA8: 69E7E083
	v_cmp_le_u32_e64 s[40:41], v240, v64                       // 000000020BAC: D0CB0028 000281F0
	v_add_u32_e32 v240, 64, v240                               // 000000020BB4: 69E1E0C0
	s_nop 0                                                    // 000000020BB8: BF800000
	v_cndmask_b32_e64 v128, v66, v128, s[40:41]                // 000000020BBC: D1000080 00A30142
	v_cmp_le_u32_e64 s[40:41], v241, v64                       // 000000020BC4: D0CB0028 000281F1
	v_add_u32_e32 v241, 64, v241                               // 000000020BCC: 69E3E2C0
	s_nop 0                                                    // 000000020BD0: BF800000
	v_cndmask_b32_e64 v129, v66, v129, s[40:41]                // 000000020BD4: D1000081 00A30342
	v_cmp_le_u32_e64 s[40:41], v242, v64                       // 000000020BDC: D0CB0028 000281F2
	v_add_u32_e32 v242, 64, v242                               // 000000020BE4: 69E5E4C0
	s_nop 0                                                    // 000000020BE8: BF800000
	v_cndmask_b32_e64 v130, v66, v130, s[40:41]                // 000000020BEC: D1000082 00A30542
	v_cmp_le_u32_e64 s[40:41], v243, v64                       // 000000020BF4: D0CB0028 000281F3
	v_add_u32_e32 v243, 64, v243                               // 000000020BFC: 69E7E6C0
	s_nop 0                                                    // 000000020C00: BF800000
	v_cndmask_b32_e64 v131, v66, v131, s[40:41]                // 000000020C04: D1000083 00A30742
	v_cmp_le_u32_e64 s[40:41], v240, v64                       // 000000020C0C: D0CB0028 000281F0
	v_add_u32_e32 v240, 64, v240                               // 000000020C14: 69E1E0C0
	s_nop 0                                                    // 000000020C18: BF800000
	v_cndmask_b32_e64 v132, v66, v132, s[40:41]                // 000000020C1C: D1000084 00A30942
	v_cmp_le_u32_e64 s[40:41], v241, v64                       // 000000020C24: D0CB0028 000281F1
	v_add_u32_e32 v241, 64, v241                               // 000000020C2C: 69E3E2C0
	s_nop 0                                                    // 000000020C30: BF800000
	v_cndmask_b32_e64 v133, v66, v133, s[40:41]                // 000000020C34: D1000085 00A30B42
	v_cmp_le_u32_e64 s[40:41], v242, v64                       // 000000020C3C: D0CB0028 000281F2
	v_add_u32_e32 v242, 64, v242                               // 000000020C44: 69E5E4C0
	s_nop 0                                                    // 000000020C48: BF800000
	v_cndmask_b32_e64 v134, v66, v134, s[40:41]                // 000000020C4C: D1000086 00A30D42
	v_cmp_le_u32_e64 s[40:41], v243, v64                       // 000000020C54: D0CB0028 000281F3
	v_add_u32_e32 v243, 64, v243                               // 000000020C5C: 69E7E6C0
	s_nop 0                                                    // 000000020C60: BF800000
	v_cndmask_b32_e64 v135, v66, v135, s[40:41]                // 000000020C64: D1000087 00A30F42
	v_cmp_le_u32_e64 s[40:41], v240, v64                       // 000000020C6C: D0CB0028 000281F0
	v_add_u32_e32 v240, 64, v240                               // 000000020C74: 69E1E0C0
	s_nop 0                                                    // 000000020C78: BF800000
	v_cndmask_b32_e64 v136, v66, v136, s[40:41]                // 000000020C7C: D1000088 00A31142
	v_cmp_le_u32_e64 s[40:41], v241, v64                       // 000000020C84: D0CB0028 000281F1
	v_add_u32_e32 v241, 64, v241                               // 000000020C8C: 69E3E2C0
	s_nop 0                                                    // 000000020C90: BF800000
	v_cndmask_b32_e64 v137, v66, v137, s[40:41]                // 000000020C94: D1000089 00A31342
	v_cmp_le_u32_e64 s[40:41], v242, v64                       // 000000020C9C: D0CB0028 000281F2
	v_add_u32_e32 v242, 64, v242                               // 000000020CA4: 69E5E4C0
	s_nop 0                                                    // 000000020CA8: BF800000
	v_cndmask_b32_e64 v138, v66, v138, s[40:41]                // 000000020CAC: D100008A 00A31542
	v_cmp_le_u32_e64 s[40:41], v243, v64                       // 000000020CB4: D0CB0028 000281F3
	v_add_u32_e32 v243, 64, v243                               // 000000020CBC: 69E7E6C0
	s_nop 0                                                    // 000000020CC0: BF800000
	v_cndmask_b32_e64 v139, v66, v139, s[40:41]                // 000000020CC4: D100008B 00A31742
	v_cmp_le_u32_e64 s[40:41], v240, v64                       // 000000020CCC: D0CB0028 000281F0
	v_add_u32_e32 v240, 64, v240                               // 000000020CD4: 69E1E0C0
	s_nop 0                                                    // 000000020CD8: BF800000
	v_cndmask_b32_e64 v140, v66, v140, s[40:41]                // 000000020CDC: D100008C 00A31942
	v_cmp_le_u32_e64 s[40:41], v241, v64                       // 000000020CE4: D0CB0028 000281F1
	v_add_u32_e32 v241, 64, v241                               // 000000020CEC: 69E3E2C0
	s_nop 0                                                    // 000000020CF0: BF800000
	v_cndmask_b32_e64 v141, v66, v141, s[40:41]                // 000000020CF4: D100008D 00A31B42
	v_cmp_le_u32_e64 s[40:41], v242, v64                       // 000000020CFC: D0CB0028 000281F2
	v_add_u32_e32 v242, 64, v242                               // 000000020D04: 69E5E4C0
	s_nop 0                                                    // 000000020D08: BF800000
	v_cndmask_b32_e64 v142, v66, v142, s[40:41]                // 000000020D0C: D100008E 00A31D42
	v_cmp_le_u32_e64 s[40:41], v243, v64                       // 000000020D14: D0CB0028 000281F3
	v_add_u32_e32 v243, 64, v243                               // 000000020D1C: 69E7E6C0
	s_nop 0                                                    // 000000020D20: BF800000
	v_cndmask_b32_e64 v143, v66, v143, s[40:41]                // 000000020D24: D100008F 00A31F42

0000000000020d2c <label_7ACB>:
	v_mov_b32_e32 v48, v128                                    // 000000020D2C: 7E600380
	v_max3_f32 v48, v128, v129, v48                            // 000000020D30: D1D30030 04C30380
	v_max3_f32 v48, v130, v131, v48                            // 000000020D38: D1D30030 04C30782
	v_max3_f32 v48, v132, v133, v48                            // 000000020D40: D1D30030 04C30B84
	v_max3_f32 v48, v134, v135, v48                            // 000000020D48: D1D30030 04C30F86
	v_max3_f32 v48, v136, v137, v48                            // 000000020D50: D1D30030 04C31388
	v_max3_f32 v48, v138, v139, v48                            // 000000020D58: D1D30030 04C3178A
	v_max3_f32 v48, v140, v141, v48                            // 000000020D60: D1D30030 04C31B8C
	v_max3_f32 v48, v142, v143, v48                            // 000000020D68: D1D30030 04C31F8E
	ds_write_b32 v8, v48 offset:16896                          // 000000020D70: D81A4200 00003008
	v_mul_f32_e32 v216, v50, v216                              // 000000020D78: 0BB1B132
	v_mul_f32_e32 v217, v50, v217                              // 000000020D7C: 0BB3B332
	v_mul_f32_e32 v218, v50, v218                              // 000000020D80: 0BB5B532
	v_mul_f32_e32 v219, v50, v219                              // 000000020D84: 0BB7B732
	v_mul_f32_e32 v220, v50, v220                              // 000000020D88: 0BB9B932
	v_mul_f32_e32 v221, v50, v221                              // 000000020D8C: 0BBBBB32
	v_mul_f32_e32 v222, v50, v222                              // 000000020D90: 0BBDBD32
	v_mul_f32_e32 v223, v50, v223                              // 000000020D94: 0BBFBF32
	s_waitcnt lgkmcnt(0)                                       // 000000020D98: BF8CC07F
	s_barrier                                                  // 000000020D9C: BF8A0000
	ds_read_b32 v64, v7 offset:16896                           // 000000020DA0: D86C4200 40000007
	ds_read_b32 v65, v7 offset:16960                           // 000000020DA8: D86C4240 41000007
	ds_read_b32 v66, v7 offset:17024                           // 000000020DB0: D86C4280 42000007
	ds_read_b32 v67, v7 offset:17088                           // 000000020DB8: D86C42C0 43000007
	ds_read_b32 v68, v7 offset:17152                           // 000000020DC0: D86C4300 44000007
	ds_read_b32 v69, v7 offset:17216                           // 000000020DC8: D86C4340 45000007
	ds_read_b32 v70, v7 offset:17280                           // 000000020DD0: D86C4380 46000007
	ds_read_b32 v71, v7 offset:17344                           // 000000020DD8: D86C43C0 47000007
	ds_read_b32 v72, v7 offset:17408                           // 000000020DE0: D86C4400 48000007
	ds_read_b32 v73, v7 offset:17472                           // 000000020DE8: D86C4440 49000007
	ds_read_b32 v74, v7 offset:17536                           // 000000020DF0: D86C4480 4A000007
	ds_read_b32 v75, v7 offset:17600                           // 000000020DF8: D86C44C0 4B000007
	ds_read_b32 v76, v7 offset:17664                           // 000000020E00: D86C4500 4C000007
	ds_read_b32 v77, v7 offset:17728                           // 000000020E08: D86C4540 4D000007
	ds_read_b32 v78, v7 offset:17792                           // 000000020E10: D86C4580 4E000007
	ds_read_b32 v79, v7 offset:17856                           // 000000020E18: D86C45C0 4F000007
	v_cvt_f32_i32_e32 v184, v184                               // 000000020E20: 7F700BB8
	v_cvt_f32_i32_e32 v185, v185                               // 000000020E24: 7F720BB9
	v_cvt_f32_i32_e32 v186, v186                               // 000000020E28: 7F740BBA
	v_cvt_f32_i32_e32 v187, v187                               // 000000020E2C: 7F760BBB
	v_cvt_f32_i32_e32 v188, v188                               // 000000020E30: 7F780BBC
	v_cvt_f32_i32_e32 v189, v189                               // 000000020E34: 7F7A0BBD
	v_cvt_f32_i32_e32 v190, v190                               // 000000020E38: 7F7C0BBE
	v_cvt_f32_i32_e32 v191, v191                               // 000000020E3C: 7F7E0BBF
	v_mul_f32_e32 v184, v45, v184                              // 000000020E40: 0B71712D
	v_mul_f32_e32 v185, v45, v185                              // 000000020E44: 0B73732D
	v_mul_f32_e32 v186, v45, v186                              // 000000020E48: 0B75752D
	v_mul_f32_e32 v187, v45, v187                              // 000000020E4C: 0B77772D
	v_mul_f32_e32 v188, v45, v188                              // 000000020E50: 0B79792D
	v_mul_f32_e32 v189, v45, v189                              // 000000020E54: 0B7B7B2D
	v_mul_f32_e32 v190, v45, v190                              // 000000020E58: 0B7D7D2D
	v_mul_f32_e32 v191, v45, v191                              // 000000020E5C: 0B7F7F2D
	s_waitcnt lgkmcnt(0)                                       // 000000020E60: BF8CC07F
	v_max3_f32 v48, v64, v65, v48                              // 000000020E64: D1D30030 04C28340
	v_max3_f32 v48, v66, v67, v48                              // 000000020E6C: D1D30030 04C28742
	v_max3_f32 v48, v68, v69, v48                              // 000000020E74: D1D30030 04C28B44
	v_max3_f32 v48, v70, v71, v48                              // 000000020E7C: D1D30030 04C28F46
	v_max3_f32 v48, v72, v73, v48                              // 000000020E84: D1D30030 04C29348
	v_max3_f32 v48, v74, v75, v48                              // 000000020E8C: D1D30030 04C2974A
	v_max3_f32 v48, v76, v77, v48                              // 000000020E94: D1D30030 04C29B4C
	v_max3_f32 v48, v78, v79, v48                              // 000000020E9C: D1D30030 04C29F4E
	v_mov_b32_e32 v64, 0xff800000                              // 000000020EA4: 7E8002FF FF800000
	v_cmp_eq_u32_e64 s[40:41], v64, v12                        // 000000020EAC: D0CA0028 00021940
	s_nop 1                                                    // 000000020EB4: BF800001
	v_max_f32_e32 v15, v48, v12                                // 000000020EB8: 161E1930
	v_mul_f32_e32 v53, s64, v15                                // 000000020EBC: 0A6A1E40
	v_fma_f32 v128, v128, s64, -v53                            // 000000020EC0: D1CB0080 84D48180
	v_fma_f32 v129, v129, s64, -v53                            // 000000020EC8: D1CB0081 84D48181
	v_fma_f32 v130, v130, s64, -v53                            // 000000020ED0: D1CB0082 84D48182
	v_fma_f32 v131, v131, s64, -v53                            // 000000020ED8: D1CB0083 84D48183
	v_fma_f32 v132, v132, s64, -v53                            // 000000020EE0: D1CB0084 84D48184
	v_fma_f32 v133, v133, s64, -v53                            // 000000020EE8: D1CB0085 84D48185
	v_fma_f32 v134, v134, s64, -v53                            // 000000020EF0: D1CB0086 84D48186
	v_fma_f32 v135, v135, s64, -v53                            // 000000020EF8: D1CB0087 84D48187
	v_fma_f32 v136, v136, s64, -v53                            // 000000020F00: D1CB0088 84D48188
	v_fma_f32 v137, v137, s64, -v53                            // 000000020F08: D1CB0089 84D48189
	v_fma_f32 v138, v138, s64, -v53                            // 000000020F10: D1CB008A 84D4818A
	v_fma_f32 v139, v139, s64, -v53                            // 000000020F18: D1CB008B 84D4818B
	v_fma_f32 v140, v140, s64, -v53                            // 000000020F20: D1CB008C 84D4818C
	v_fma_f32 v141, v141, s64, -v53                            // 000000020F28: D1CB008D 84D4818D
	v_fma_f32 v142, v142, s64, -v53                            // 000000020F30: D1CB008E 84D4818E
	v_fma_f32 v143, v143, s64, -v53                            // 000000020F38: D1CB008F 84D4818F
	v_exp_f32_e32 v128, v128                                   // 000000020F40: 7F004180
	v_exp_f32_e32 v129, v129                                   // 000000020F44: 7F024181
	v_exp_f32_e32 v130, v130                                   // 000000020F48: 7F044182
	v_exp_f32_e32 v131, v131                                   // 000000020F4C: 7F064183
	v_exp_f32_e32 v132, v132                                   // 000000020F50: 7F084184
	v_exp_f32_e32 v133, v133                                   // 000000020F54: 7F0A4185
	v_exp_f32_e32 v134, v134                                   // 000000020F58: 7F0C4186
	v_exp_f32_e32 v135, v135                                   // 000000020F5C: 7F0E4187
	v_exp_f32_e32 v136, v136                                   // 000000020F60: 7F104188
	v_exp_f32_e32 v137, v137                                   // 000000020F64: 7F124189
	v_exp_f32_e32 v138, v138                                   // 000000020F68: 7F14418A
	v_exp_f32_e32 v139, v139                                   // 000000020F6C: 7F16418B
	v_exp_f32_e32 v140, v140                                   // 000000020F70: 7F18418C
	v_exp_f32_e32 v141, v141                                   // 000000020F74: 7F1A418D
	v_exp_f32_e32 v142, v142                                   // 000000020F78: 7F1C418E
	v_exp_f32_e32 v143, v143                                   // 000000020F7C: 7F1E418F
	v_mul_f32_dpp v240, v252, v128 quad_perm:[0,0,0,0] row_mask:0xf bank_mask:0xf// 000000020F80: 0BE100FA FF0000FC
	v_mul_f32_dpp v241, v252, v129 quad_perm:[1,1,1,1] row_mask:0xf bank_mask:0xf// 000000020F88: 0BE302FA FF0055FC
	v_mul_f32_dpp v242, v252, v130 quad_perm:[2,2,2,2] row_mask:0xf bank_mask:0xf// 000000020F90: 0BE504FA FF00AAFC
	v_mul_f32_dpp v243, v252, v131 quad_perm:[3,3,3,3] row_mask:0xf bank_mask:0xf// 000000020F98: 0BE706FA FF00FFFC
	v_mul_f32_dpp v244, v253, v132 quad_perm:[0,0,0,0] row_mask:0xf bank_mask:0xf// 000000020FA0: 0BE908FA FF0000FD
	v_mul_f32_dpp v245, v253, v133 quad_perm:[1,1,1,1] row_mask:0xf bank_mask:0xf// 000000020FA8: 0BEB0AFA FF0055FD
	v_mul_f32_dpp v246, v253, v134 quad_perm:[2,2,2,2] row_mask:0xf bank_mask:0xf// 000000020FB0: 0BED0CFA FF00AAFD
	v_mul_f32_dpp v247, v253, v135 quad_perm:[3,3,3,3] row_mask:0xf bank_mask:0xf// 000000020FB8: 0BEF0EFA FF00FFFD
	v_mul_f32_dpp v248, v254, v136 quad_perm:[0,0,0,0] row_mask:0xf bank_mask:0xf// 000000020FC0: 0BF110FA FF0000FE
	v_mul_f32_dpp v249, v254, v137 quad_perm:[1,1,1,1] row_mask:0xf bank_mask:0xf// 000000020FC8: 0BF312FA FF0055FE
	v_mul_f32_dpp v250, v254, v138 quad_perm:[2,2,2,2] row_mask:0xf bank_mask:0xf// 000000020FD0: 0BF514FA FF00AAFE
	v_mul_f32_dpp v251, v254, v139 quad_perm:[3,3,3,3] row_mask:0xf bank_mask:0xf// 000000020FD8: 0BF716FA FF00FFFE
	v_mul_f32_dpp v252, v255, v140 quad_perm:[0,0,0,0] row_mask:0xf bank_mask:0xf// 000000020FE0: 0BF918FA FF0000FF
	v_mul_f32_dpp v253, v255, v141 quad_perm:[1,1,1,1] row_mask:0xf bank_mask:0xf// 000000020FE8: 0BFB1AFA FF0055FF
	v_mul_f32_dpp v254, v255, v142 quad_perm:[2,2,2,2] row_mask:0xf bank_mask:0xf// 000000020FF0: 0BFD1CFA FF00AAFF
	v_mul_f32_dpp v255, v255, v143 quad_perm:[3,3,3,3] row_mask:0xf bank_mask:0xf// 000000020FF8: 0BFF1EFA FF00FFFF
	v_mov_b32_e32 v48, 0x358637bd                              // 000000021000: 7E6002FF 358637BD
	v_max3_f32 v48, |v240|, |v241|, v48                        // 000000021008: D1D30330 04C3E3F0
	v_max3_f32 v48, |v242|, |v243|, v48                        // 000000021010: D1D30330 04C3E7F2
	v_max3_f32 v48, |v244|, |v245|, v48                        // 000000021018: D1D30330 04C3EBF4
	v_max3_f32 v48, |v246|, |v247|, v48                        // 000000021020: D1D30330 04C3EFF6
	v_max3_f32 v48, |v248|, |v249|, v48                        // 000000021028: D1D30330 04C3F3F8
	v_max3_f32 v48, |v250|, |v251|, v48                        // 000000021030: D1D30330 04C3F7FA
	v_max3_f32 v48, |v252|, |v253|, v48                        // 000000021038: D1D30330 04C3FBFC
	v_max3_f32 v48, |v254|, |v255|, v48                        // 000000021040: D1D30330 04C3FFFE
	ds_write_b32 v8, v48 offset:20992                          // 000000021048: D81A5200 00003008
	v_sub_f32_e32 v50, v12, v15                                // 000000021050: 04641F0C
	v_cndmask_b32_e64 v50, v50, 0, s[40:41]                    // 000000021054: D1000032 00A10132
	v_mov_b32_e32 v12, v15                                     // 00000002105C: 7E18030F
	v_mul_f32_e32 v50, s64, v50                                // 000000021060: 0A646440
	v_exp_f32_e32 v50, v50                                     // 000000021064: 7E644132
	s_waitcnt lgkmcnt(0)                                       // 000000021068: BF8CC07F
	s_barrier                                                  // 00000002106C: BF8A0000
	ds_read_b32 v64, v7 offset:20992                           // 000000021070: D86C5200 40000007
	ds_read_b32 v65, v7 offset:21056                           // 000000021078: D86C5240 41000007
	ds_read_b32 v66, v7 offset:21120                           // 000000021080: D86C5280 42000007
	ds_read_b32 v67, v7 offset:21184                           // 000000021088: D86C52C0 43000007
	ds_read_b32 v68, v7 offset:21248                           // 000000021090: D86C5300 44000007
	ds_read_b32 v69, v7 offset:21312                           // 000000021098: D86C5340 45000007
	ds_read_b32 v70, v7 offset:21376                           // 0000000210A0: D86C5380 46000007
	ds_read_b32 v71, v7 offset:21440                           // 0000000210A8: D86C53C0 47000007
	ds_read_b32 v72, v7 offset:21504                           // 0000000210B0: D86C5400 48000007
	ds_read_b32 v73, v7 offset:21568                           // 0000000210B8: D86C5440 49000007
	ds_read_b32 v74, v7 offset:21632                           // 0000000210C0: D86C5480 4A000007
	ds_read_b32 v75, v7 offset:21696                           // 0000000210C8: D86C54C0 4B000007
	ds_read_b32 v76, v7 offset:21760                           // 0000000210D0: D86C5500 4C000007
	ds_read_b32 v77, v7 offset:21824                           // 0000000210D8: D86C5540 4D000007
	ds_read_b32 v78, v7 offset:21888                           // 0000000210E0: D86C5580 4E000007
	ds_read_b32 v79, v7 offset:21952                           // 0000000210E8: D86C55C0 4F000007
	v_mul_f32_e32 v39, v50, v39                                // 0000000210F0: 0A4E4F32
	v_mov_b32_e32 v15, v128                                    // 0000000210F4: 7E1E0380
	v_add_f32_e32 v15, v129, v15                               // 0000000210F8: 021E1F81
	v_add_f32_e32 v15, v130, v15                               // 0000000210FC: 021E1F82
	v_add_f32_e32 v15, v131, v15                               // 000000021100: 021E1F83
	v_add_f32_e32 v15, v132, v15                               // 000000021104: 021E1F84
	v_add_f32_e32 v15, v133, v15                               // 000000021108: 021E1F85
	v_add_f32_e32 v15, v134, v15                               // 00000002110C: 021E1F86
	v_add_f32_e32 v15, v135, v15                               // 000000021110: 021E1F87
	v_add_f32_e32 v15, v136, v15                               // 000000021114: 021E1F88
	v_add_f32_e32 v15, v137, v15                               // 000000021118: 021E1F89
	v_add_f32_e32 v15, v138, v15                               // 00000002111C: 021E1F8A
	v_add_f32_e32 v15, v139, v15                               // 000000021120: 021E1F8B
	v_add_f32_e32 v15, v140, v15                               // 000000021124: 021E1F8C
	v_add_f32_e32 v15, v141, v15                               // 000000021128: 021E1F8D
	v_add_f32_e32 v15, v142, v15                               // 00000002112C: 021E1F8E
	v_add_f32_e32 v15, v143, v15                               // 000000021130: 021E1F8F
	v_add_f32_e32 v39, v15, v39                                // 000000021134: 024E4F0F
	s_waitcnt lgkmcnt(0)                                       // 000000021138: BF8CC07F
	v_max3_f32 v48, |v64|, |v65|, v48                          // 00000002113C: D1D30330 04C28340
	v_max3_f32 v48, |v66|, |v67|, v48                          // 000000021144: D1D30330 04C28742
	v_max3_f32 v48, |v68|, |v69|, v48                          // 00000002114C: D1D30330 04C28B44
	v_max3_f32 v48, |v70|, |v71|, v48                          // 000000021154: D1D30330 04C28F46
	v_max3_f32 v48, |v72|, |v73|, v48                          // 00000002115C: D1D30330 04C29348
	v_max3_f32 v48, |v74|, |v75|, v48                          // 000000021164: D1D30330 04C2974A
	v_max3_f32 v48, |v76|, |v77|, v48                          // 00000002116C: D1D30330 04C29B4C
	v_max3_f32 v48, |v78|, |v79|, v48                          // 000000021174: D1D30330 04C29F4E
	s_nop 2                                                    // 00000002117C: BF800002
	v_rcp_f32_e32 v48, v48                                     // 000000021180: 7E604530
	s_nop 1                                                    // 000000021184: BF800001
	v_mul_f32_e32 v48, 0x42fe0000, v48                         // 000000021188: 0A6060FF 42FE0000
	v_mul_f32_e32 v128, v48, v240                              // 000000021190: 0B01E130
	v_mul_f32_e32 v129, v48, v241                              // 000000021194: 0B03E330
	v_mul_f32_e32 v130, v48, v242                              // 000000021198: 0B05E530
	v_mul_f32_e32 v131, v48, v243                              // 00000002119C: 0B07E730
	v_mul_f32_e32 v132, v48, v244                              // 0000000211A0: 0B09E930
	v_mul_f32_e32 v133, v48, v245                              // 0000000211A4: 0B0BEB30
	v_mul_f32_e32 v134, v48, v246                              // 0000000211A8: 0B0DED30
	v_mul_f32_e32 v135, v48, v247                              // 0000000211AC: 0B0FEF30
	v_mul_f32_e32 v136, v48, v248                              // 0000000211B0: 0B11F130
	v_mul_f32_e32 v137, v48, v249                              // 0000000211B4: 0B13F330
	v_mul_f32_e32 v138, v48, v250                              // 0000000211B8: 0B15F530
	v_mul_f32_e32 v139, v48, v251                              // 0000000211BC: 0B17F730
	v_mul_f32_e32 v140, v48, v252                              // 0000000211C0: 0B19F930
	v_mul_f32_e32 v141, v48, v253                              // 0000000211C4: 0B1BFB30
	v_mul_f32_e32 v142, v48, v254                              // 0000000211C8: 0B1DFD30
	v_mul_f32_e32 v143, v48, v255                              // 0000000211CC: 0B1FFF30
	v_cvt_i32_f32_e32 v128, v128                               // 0000000211D0: 7F001180
	v_cvt_i32_f32_e32 v129, v129                               // 0000000211D4: 7F021181
	v_cvt_i32_f32_e32 v130, v130                               // 0000000211D8: 7F041182
	v_cvt_i32_f32_e32 v131, v131                               // 0000000211DC: 7F061183
	v_cvt_i32_f32_e32 v132, v132                               // 0000000211E0: 7F081184
	v_cvt_i32_f32_e32 v133, v133                               // 0000000211E4: 7F0A1185
	v_cvt_i32_f32_e32 v134, v134                               // 0000000211E8: 7F0C1186
	v_cvt_i32_f32_e32 v135, v135                               // 0000000211EC: 7F0E1187
	v_cvt_i32_f32_e32 v136, v136                               // 0000000211F0: 7F101188
	v_cvt_i32_f32_e32 v137, v137                               // 0000000211F4: 7F121189
	v_cvt_i32_f32_e32 v138, v138                               // 0000000211F8: 7F14118A
	v_cvt_i32_f32_e32 v139, v139                               // 0000000211FC: 7F16118B
	v_cvt_i32_f32_e32 v140, v140                               // 000000021200: 7F18118C
	v_cvt_i32_f32_e32 v141, v141                               // 000000021204: 7F1A118D
	v_cvt_i32_f32_e32 v142, v142                               // 000000021208: 7F1C118E
	v_cvt_i32_f32_e32 v143, v143                               // 00000002120C: 7F1E118F
	v_perm_b32 v128, v129, v128, s53                           // 000000021210: D1ED0080 00D70181
	v_perm_b32 v128, v130, v128, s54                           // 000000021218: D1ED0080 00DB0182
	v_perm_b32 v128, v131, v128, s55                           // 000000021220: D1ED0080 00DF0183
	v_perm_b32 v129, v133, v132, s53                           // 000000021228: D1ED0081 00D70985
	v_perm_b32 v129, v134, v129, s54                           // 000000021230: D1ED0081 00DB0386
	v_perm_b32 v129, v135, v129, s55                           // 000000021238: D1ED0081 00DF0387
	v_perm_b32 v130, v137, v136, s53                           // 000000021240: D1ED0082 00D71189
	v_perm_b32 v130, v138, v130, s54                           // 000000021248: D1ED0082 00DB058A
	v_perm_b32 v130, v139, v130, s55                           // 000000021250: D1ED0082 00DF058B
	v_perm_b32 v131, v141, v140, s53                           // 000000021258: D1ED0083 00D7198D
	v_perm_b32 v131, v142, v131, s54                           // 000000021260: D1ED0083 00DB078E
	v_perm_b32 v131, v143, v131, s55                           // 000000021268: D1ED0083 00DF078F
	ds_write_b32 v10, v128 offset:29184                        // 000000021270: D81A7200 0000800A
	ds_write_b32 v10, v129 offset:30208                        // 000000021278: D81A7600 0000810A
	ds_write_b32 v10, v130 offset:31232                        // 000000021280: D81A7A00 0000820A
	ds_write_b32 v10, v131 offset:32256                        // 000000021288: D81A7E00 0000830A
	v_add_f32_e32 v216, v216, v184                             // 000000021290: 03B171D8
	v_add_f32_e32 v217, v217, v185                             // 000000021294: 03B373D9
	v_add_f32_e32 v218, v218, v186                             // 000000021298: 03B575DA
	v_add_f32_e32 v219, v219, v187                             // 00000002129C: 03B777DB
	v_add_f32_e32 v220, v220, v188                             // 0000000212A0: 03B979DC
	v_add_f32_e32 v221, v221, v189                             // 0000000212A4: 03BB7BDD
	v_add_f32_e32 v222, v222, v190                             // 0000000212A8: 03BD7DDE
	v_add_f32_e32 v223, v223, v191                             // 0000000212AC: 03BF7FDF
	v_rcp_f32_e32 v45, v48                                     // 0000000212B0: 7E5A4530
	s_waitcnt lgkmcnt(0)                                       // 0000000212B4: BF8CC07F
	s_barrier                                                  // 0000000212B8: BF8A0000
	ds_read_b64 v[128:129], v9 offset:29184                    // 0000000212BC: D8EC7200 80000009
	ds_read_b64 v[130:131], v9 offset:29312                    // 0000000212C4: D8EC7280 82000009
	ds_read_b64 v[132:133], v9 offset:30208                    // 0000000212CC: D8EC7600 84000009
	ds_read_b64 v[134:135], v9 offset:30336                    // 0000000212D4: D8EC7680 86000009
	ds_read_b64 v[136:137], v9 offset:31232                    // 0000000212DC: D8EC7A00 88000009
	ds_read_b64 v[138:139], v9 offset:31360                    // 0000000212E4: D8EC7A80 8A000009
	ds_read_b64 v[140:141], v9 offset:32256                    // 0000000212EC: D8EC7E00 8C000009
	ds_read_b64 v[142:143], v9 offset:32384                    // 0000000212F4: D8EC7E80 8E000009
	v_mov_b32_dpp v64, v42 row_shr:4 row_mask:0xf bank_mask:0xf// 0000000212FC: 7E8002FA FF01142A
	v_mov_b32_dpp v65, v42 row_shl:4 row_mask:0xf bank_mask:0xf// 000000021304: 7E8202FA FF01042A
	v_cndmask_b32_e64 v248, v42, v64, s[44:45]                 // 00000002130C: D10000F8 00B2812A
	v_cndmask_b32_e64 v249, v65, v42, s[44:45]                 // 000000021314: D10000F9 00B25541
	v_mov_b32_dpp v64, v248 row_shr:8 row_mask:0xf bank_mask:0xf// 00000002131C: 7E8002FA FF0118F8
	v_mov_b32_dpp v65, v248 row_shl:8 row_mask:0xf bank_mask:0xf// 000000021324: 7E8202FA FF0108F8
	v_mov_b32_dpp v66, v249 row_shr:8 row_mask:0xf bank_mask:0xf// 00000002132C: 7E8402FA FF0118F9
	v_mov_b32_dpp v67, v249 row_shl:8 row_mask:0xf bank_mask:0xf// 000000021334: 7E8602FA FF0108F9
	v_mov_b32_e32 v68, v248                                    // 00000002133C: 7E8803F8
	v_mov_b32_e32 v69, v249                                    // 000000021340: 7E8A03F9
	v_cndmask_b32_e64 v248, v68, v64, s[42:43]                 // 000000021344: D10000F8 00AA8144
	v_cndmask_b32_e64 v250, v68, v65, s[78:79]                 // 00000002134C: D10000FA 013A8344
	v_cndmask_b32_e64 v249, v69, v66, s[42:43]                 // 000000021354: D10000F9 00AA8545
	v_cndmask_b32_e64 v251, v69, v67, s[78:79]                 // 00000002135C: D10000FB 013A8745
	v_mov_b32_dpp v64, v57 row_shr:4 row_mask:0xf bank_mask:0xf// 000000021364: 7E8002FA FF011439
	v_mov_b32_dpp v65, v57 row_shl:4 row_mask:0xf bank_mask:0xf// 00000002136C: 7E8202FA FF010439
	v_cndmask_b32_e64 v252, v57, v64, s[44:45]                 // 000000021374: D10000FC 00B28139
	v_cndmask_b32_e64 v253, v65, v57, s[44:45]                 // 00000002137C: D10000FD 00B27341
	v_mov_b32_dpp v64, v252 row_shr:8 row_mask:0xf bank_mask:0xf// 000000021384: 7E8002FA FF0118FC
	v_mov_b32_dpp v65, v252 row_shl:8 row_mask:0xf bank_mask:0xf// 00000002138C: 7E8202FA FF0108FC
	v_mov_b32_dpp v66, v253 row_shr:8 row_mask:0xf bank_mask:0xf// 000000021394: 7E8402FA FF0118FD
	v_mov_b32_dpp v67, v253 row_shl:8 row_mask:0xf bank_mask:0xf// 00000002139C: 7E8602FA FF0108FD
	v_mov_b32_e32 v68, v252                                    // 0000000213A4: 7E8803FC
	v_mov_b32_e32 v69, v253                                    // 0000000213A8: 7E8A03FD
	v_cndmask_b32_e64 v252, v68, v64, s[42:43]                 // 0000000213AC: D10000FC 00AA8144
	v_cndmask_b32_e64 v254, v68, v65, s[78:79]                 // 0000000213B4: D10000FE 013A8344
	v_cndmask_b32_e64 v253, v69, v66, s[42:43]                 // 0000000213BC: D10000FD 00AA8545
	v_cndmask_b32_e64 v255, v69, v67, s[78:79]                 // 0000000213C4: D10000FF 013A8745
	v_cvt_f32_i32_e32 v144, v144                               // 0000000213CC: 7F200B90
	v_cvt_f32_i32_e32 v145, v145                               // 0000000213D0: 7F220B91
	v_cvt_f32_i32_e32 v146, v146                               // 0000000213D4: 7F240B92
	v_cvt_f32_i32_e32 v147, v147                               // 0000000213D8: 7F260B93
	v_cvt_f32_i32_e32 v148, v148                               // 0000000213DC: 7F280B94
	v_cvt_f32_i32_e32 v149, v149                               // 0000000213E0: 7F2A0B95
	v_cvt_f32_i32_e32 v150, v150                               // 0000000213E4: 7F2C0B96
	v_cvt_f32_i32_e32 v151, v151                               // 0000000213E8: 7F2E0B97
	v_cvt_f32_i32_e32 v152, v152                               // 0000000213EC: 7F300B98
	v_cvt_f32_i32_e32 v153, v153                               // 0000000213F0: 7F320B99
	v_cvt_f32_i32_e32 v154, v154                               // 0000000213F4: 7F340B9A
	v_cvt_f32_i32_e32 v155, v155                               // 0000000213F8: 7F360B9B
	v_cvt_f32_i32_e32 v156, v156                               // 0000000213FC: 7F380B9C
	v_cvt_f32_i32_e32 v157, v157                               // 000000021400: 7F3A0B9D
	v_cvt_f32_i32_e32 v158, v158                               // 000000021404: 7F3C0B9E
	v_cvt_f32_i32_e32 v159, v159                               // 000000021408: 7F3E0B9F
	v_mul_f32_e32 v144, v20, v144                              // 00000002140C: 0B212114
	v_mul_f32_e32 v145, v20, v145                              // 000000021410: 0B232314
	v_mul_f32_e32 v146, v20, v146                              // 000000021414: 0B252514
	v_mul_f32_e32 v147, v20, v147                              // 000000021418: 0B272714
	v_mul_f32_e32 v148, v20, v148                              // 00000002141C: 0B292914
	v_mul_f32_e32 v149, v20, v149                              // 000000021420: 0B2B2B14
	v_mul_f32_e32 v150, v20, v150                              // 000000021424: 0B2D2D14
	v_mul_f32_e32 v151, v20, v151                              // 000000021428: 0B2F2F14
	v_mul_f32_e32 v152, v20, v152                              // 00000002142C: 0B313114
	v_mul_f32_e32 v153, v20, v153                              // 000000021430: 0B333314
	v_mul_f32_e32 v154, v20, v154                              // 000000021434: 0B353514
	v_mul_f32_e32 v155, v20, v155                              // 000000021438: 0B373714
	v_mul_f32_e32 v156, v20, v156                              // 00000002143C: 0B393914
	v_mul_f32_e32 v157, v20, v157                              // 000000021440: 0B3B3B14
	v_mul_f32_e32 v158, v20, v158                              // 000000021444: 0B3D3D14
	v_mul_f32_e32 v159, v20, v159                              // 000000021448: 0B3F3F14
	v_mul_f32_dpp v144, v248, v144 quad_perm:[0,0,0,0] row_mask:0xf bank_mask:0xf// 00000002144C: 0B2120FA FF0000F8
	v_mul_f32_dpp v145, v248, v145 quad_perm:[1,1,1,1] row_mask:0xf bank_mask:0xf// 000000021454: 0B2322FA FF0055F8
	v_mul_f32_dpp v146, v248, v146 quad_perm:[2,2,2,2] row_mask:0xf bank_mask:0xf// 00000002145C: 0B2524FA FF00AAF8
	v_mul_f32_dpp v147, v248, v147 quad_perm:[3,3,3,3] row_mask:0xf bank_mask:0xf// 000000021464: 0B2726FA FF00FFF8
	v_mul_f32_dpp v148, v249, v148 quad_perm:[0,0,0,0] row_mask:0xf bank_mask:0xf// 00000002146C: 0B2928FA FF0000F9
	v_mul_f32_dpp v149, v249, v149 quad_perm:[1,1,1,1] row_mask:0xf bank_mask:0xf// 000000021474: 0B2B2AFA FF0055F9
	v_mul_f32_dpp v150, v249, v150 quad_perm:[2,2,2,2] row_mask:0xf bank_mask:0xf// 00000002147C: 0B2D2CFA FF00AAF9
	v_mul_f32_dpp v151, v249, v151 quad_perm:[3,3,3,3] row_mask:0xf bank_mask:0xf// 000000021484: 0B2F2EFA FF00FFF9
	v_mul_f32_dpp v152, v250, v152 quad_perm:[0,0,0,0] row_mask:0xf bank_mask:0xf// 00000002148C: 0B3130FA FF0000FA
	v_mul_f32_dpp v153, v250, v153 quad_perm:[1,1,1,1] row_mask:0xf bank_mask:0xf// 000000021494: 0B3332FA FF0055FA
	v_mul_f32_dpp v154, v250, v154 quad_perm:[2,2,2,2] row_mask:0xf bank_mask:0xf// 00000002149C: 0B3534FA FF00AAFA
	v_mul_f32_dpp v155, v250, v155 quad_perm:[3,3,3,3] row_mask:0xf bank_mask:0xf// 0000000214A4: 0B3736FA FF00FFFA
	v_mul_f32_dpp v156, v251, v156 quad_perm:[0,0,0,0] row_mask:0xf bank_mask:0xf// 0000000214AC: 0B3938FA FF0000FB
	v_mul_f32_dpp v157, v251, v157 quad_perm:[1,1,1,1] row_mask:0xf bank_mask:0xf// 0000000214B4: 0B3B3AFA FF0055FB
	v_mul_f32_dpp v158, v251, v158 quad_perm:[2,2,2,2] row_mask:0xf bank_mask:0xf// 0000000214BC: 0B3D3CFA FF00AAFB
	v_mul_f32_dpp v159, v251, v159 quad_perm:[3,3,3,3] row_mask:0xf bank_mask:0xf// 0000000214C4: 0B3F3EFA FF00FFFB
	s_cmp_le_i32 s90, s89                                      // 0000000214CC: BF05595A
	s_cbranch_scc1 label_7D26                                  // 0000000214D0: BF850071
	v_mov_b32_e32 v66, 0xff800000                              // 0000000214D4: 7E8402FF FF800000
	s_mov_b32 s60, s90                                         // 0000000214DC: BEBC005A
	s_add_u32 s61, s89, 0xff                                   // 0000000214E0: 803DFF59 000000FF
	v_mov_b32_e32 v64, s61                                     // 0000000214E8: 7E80023D
	v_lshrrev_b32_e32 v240, 4, v0                              // 0000000214EC: 21E00084
	v_mul_i32_i24_e32 v240, 4, v240                            // 0000000214F0: 0DE1E084
	v_add_u32_e32 v240, s60, v240                              // 0000000214F4: 69E1E03C
	s_mov_b32 s61, 2                                           // 0000000214F8: BEBD0082
	s_mul_i32 s60, 16, s7                                      // 0000000214FC: 923C0790
	v_sub_u32_e64 v240, v240, s61                              // 000000021500: D13500F0 00007BF0
	v_add_u32_e32 v240, s60, v240                              // 000000021508: 69E1E03C
	v_add_u32_e32 v241, 1, v240                                // 00000002150C: 69E3E081
	v_add_u32_e32 v242, 2, v240                                // 000000021510: 69E5E082
	v_add_u32_e32 v243, 3, v240                                // 000000021514: 69E7E083
	v_cmp_le_u32_e64 s[40:41], v240, v64                       // 000000021518: D0CB0028 000281F0
	v_add_u32_e32 v240, 64, v240                               // 000000021520: 69E1E0C0
	s_nop 0                                                    // 000000021524: BF800000
	v_cndmask_b32_e64 v144, v66, v144, s[40:41]                // 000000021528: D1000090 00A32142
	v_cmp_le_u32_e64 s[40:41], v241, v64                       // 000000021530: D0CB0028 000281F1
	v_add_u32_e32 v241, 64, v241                               // 000000021538: 69E3E2C0
	s_nop 0                                                    // 00000002153C: BF800000
	v_cndmask_b32_e64 v145, v66, v145, s[40:41]                // 000000021540: D1000091 00A32342
	v_cmp_le_u32_e64 s[40:41], v242, v64                       // 000000021548: D0CB0028 000281F2
	v_add_u32_e32 v242, 64, v242                               // 000000021550: 69E5E4C0
	s_nop 0                                                    // 000000021554: BF800000
	v_cndmask_b32_e64 v146, v66, v146, s[40:41]                // 000000021558: D1000092 00A32542
	v_cmp_le_u32_e64 s[40:41], v243, v64                       // 000000021560: D0CB0028 000281F3
	v_add_u32_e32 v243, 64, v243                               // 000000021568: 69E7E6C0
	s_nop 0                                                    // 00000002156C: BF800000
	v_cndmask_b32_e64 v147, v66, v147, s[40:41]                // 000000021570: D1000093 00A32742
	v_cmp_le_u32_e64 s[40:41], v240, v64                       // 000000021578: D0CB0028 000281F0
	v_add_u32_e32 v240, 64, v240                               // 000000021580: 69E1E0C0
	s_nop 0                                                    // 000000021584: BF800000
	v_cndmask_b32_e64 v148, v66, v148, s[40:41]                // 000000021588: D1000094 00A32942
	v_cmp_le_u32_e64 s[40:41], v241, v64                       // 000000021590: D0CB0028 000281F1
	v_add_u32_e32 v241, 64, v241                               // 000000021598: 69E3E2C0
	s_nop 0                                                    // 00000002159C: BF800000
	v_cndmask_b32_e64 v149, v66, v149, s[40:41]                // 0000000215A0: D1000095 00A32B42
	v_cmp_le_u32_e64 s[40:41], v242, v64                       // 0000000215A8: D0CB0028 000281F2
	v_add_u32_e32 v242, 64, v242                               // 0000000215B0: 69E5E4C0
	s_nop 0                                                    // 0000000215B4: BF800000
	v_cndmask_b32_e64 v150, v66, v150, s[40:41]                // 0000000215B8: D1000096 00A32D42
	v_cmp_le_u32_e64 s[40:41], v243, v64                       // 0000000215C0: D0CB0028 000281F3
	v_add_u32_e32 v243, 64, v243                               // 0000000215C8: 69E7E6C0
	s_nop 0                                                    // 0000000215CC: BF800000
	v_cndmask_b32_e64 v151, v66, v151, s[40:41]                // 0000000215D0: D1000097 00A32F42
	v_cmp_le_u32_e64 s[40:41], v240, v64                       // 0000000215D8: D0CB0028 000281F0
	v_add_u32_e32 v240, 64, v240                               // 0000000215E0: 69E1E0C0
	s_nop 0                                                    // 0000000215E4: BF800000
	v_cndmask_b32_e64 v152, v66, v152, s[40:41]                // 0000000215E8: D1000098 00A33142
	v_cmp_le_u32_e64 s[40:41], v241, v64                       // 0000000215F0: D0CB0028 000281F1
	v_add_u32_e32 v241, 64, v241                               // 0000000215F8: 69E3E2C0
	s_nop 0                                                    // 0000000215FC: BF800000
	v_cndmask_b32_e64 v153, v66, v153, s[40:41]                // 000000021600: D1000099 00A33342
	v_cmp_le_u32_e64 s[40:41], v242, v64                       // 000000021608: D0CB0028 000281F2
	v_add_u32_e32 v242, 64, v242                               // 000000021610: 69E5E4C0
	s_nop 0                                                    // 000000021614: BF800000
	v_cndmask_b32_e64 v154, v66, v154, s[40:41]                // 000000021618: D100009A 00A33542
	v_cmp_le_u32_e64 s[40:41], v243, v64                       // 000000021620: D0CB0028 000281F3
	v_add_u32_e32 v243, 64, v243                               // 000000021628: 69E7E6C0
	s_nop 0                                                    // 00000002162C: BF800000
	v_cndmask_b32_e64 v155, v66, v155, s[40:41]                // 000000021630: D100009B 00A33742
	v_cmp_le_u32_e64 s[40:41], v240, v64                       // 000000021638: D0CB0028 000281F0
	v_add_u32_e32 v240, 64, v240                               // 000000021640: 69E1E0C0
	s_nop 0                                                    // 000000021644: BF800000
	v_cndmask_b32_e64 v156, v66, v156, s[40:41]                // 000000021648: D100009C 00A33942
	v_cmp_le_u32_e64 s[40:41], v241, v64                       // 000000021650: D0CB0028 000281F1
	v_add_u32_e32 v241, 64, v241                               // 000000021658: 69E3E2C0
	s_nop 0                                                    // 00000002165C: BF800000
	v_cndmask_b32_e64 v157, v66, v157, s[40:41]                // 000000021660: D100009D 00A33B42
	v_cmp_le_u32_e64 s[40:41], v242, v64                       // 000000021668: D0CB0028 000281F2
	v_add_u32_e32 v242, 64, v242                               // 000000021670: 69E5E4C0
	s_nop 0                                                    // 000000021674: BF800000
	v_cndmask_b32_e64 v158, v66, v158, s[40:41]                // 000000021678: D100009E 00A33D42
	v_cmp_le_u32_e64 s[40:41], v243, v64                       // 000000021680: D0CB0028 000281F3
	v_add_u32_e32 v243, 64, v243                               // 000000021688: 69E7E6C0
	s_nop 0                                                    // 00000002168C: BF800000
	v_cndmask_b32_e64 v159, v66, v159, s[40:41]                // 000000021690: D100009F 00A33F42

0000000000021698 <label_7D26>:
	v_mov_b32_e32 v48, v144                                    // 000000021698: 7E600390
	v_max3_f32 v48, v144, v145, v48                            // 00000002169C: D1D30030 04C32390
	v_max3_f32 v48, v146, v147, v48                            // 0000000216A4: D1D30030 04C32792
	v_max3_f32 v48, v148, v149, v48                            // 0000000216AC: D1D30030 04C32B94
	v_max3_f32 v48, v150, v151, v48                            // 0000000216B4: D1D30030 04C32F96
	v_max3_f32 v48, v152, v153, v48                            // 0000000216BC: D1D30030 04C33398
	v_max3_f32 v48, v154, v155, v48                            // 0000000216C4: D1D30030 04C3379A
	v_max3_f32 v48, v156, v157, v48                            // 0000000216CC: D1D30030 04C33B9C
	v_max3_f32 v48, v158, v159, v48                            // 0000000216D4: D1D30030 04C33F9E
	ds_write_b32 v8, v48 offset:16896                          // 0000000216DC: D81A4200 00003008
	v_mul_f32_e32 v224, v51, v224                              // 0000000216E4: 0BC1C133
	v_mul_f32_e32 v225, v51, v225                              // 0000000216E8: 0BC3C333
	v_mul_f32_e32 v226, v51, v226                              // 0000000216EC: 0BC5C533
	v_mul_f32_e32 v227, v51, v227                              // 0000000216F0: 0BC7C733
	v_mul_f32_e32 v228, v51, v228                              // 0000000216F4: 0BC9C933
	v_mul_f32_e32 v229, v51, v229                              // 0000000216F8: 0BCBCB33
	v_mul_f32_e32 v230, v51, v230                              // 0000000216FC: 0BCDCD33
	v_mul_f32_e32 v231, v51, v231                              // 000000021700: 0BCFCF33
	s_waitcnt lgkmcnt(0)                                       // 000000021704: BF8CC07F
	s_barrier                                                  // 000000021708: BF8A0000
	ds_read_b32 v64, v7 offset:16896                           // 00000002170C: D86C4200 40000007
	ds_read_b32 v65, v7 offset:16960                           // 000000021714: D86C4240 41000007
	ds_read_b32 v66, v7 offset:17024                           // 00000002171C: D86C4280 42000007
	ds_read_b32 v67, v7 offset:17088                           // 000000021724: D86C42C0 43000007
	ds_read_b32 v68, v7 offset:17152                           // 00000002172C: D86C4300 44000007
	ds_read_b32 v69, v7 offset:17216                           // 000000021734: D86C4340 45000007
	ds_read_b32 v70, v7 offset:17280                           // 00000002173C: D86C4380 46000007
	ds_read_b32 v71, v7 offset:17344                           // 000000021744: D86C43C0 47000007
	ds_read_b32 v72, v7 offset:17408                           // 00000002174C: D86C4400 48000007
	ds_read_b32 v73, v7 offset:17472                           // 000000021754: D86C4440 49000007
	ds_read_b32 v74, v7 offset:17536                           // 00000002175C: D86C4480 4A000007
	ds_read_b32 v75, v7 offset:17600                           // 000000021764: D86C44C0 4B000007
	ds_read_b32 v76, v7 offset:17664                           // 00000002176C: D86C4500 4C000007
	ds_read_b32 v77, v7 offset:17728                           // 000000021774: D86C4540 4D000007
	ds_read_b32 v78, v7 offset:17792                           // 00000002177C: D86C4580 4E000007
	ds_read_b32 v79, v7 offset:17856                           // 000000021784: D86C45C0 4F000007
	v_cvt_f32_i32_e32 v192, v192                               // 00000002178C: 7F800BC0
	v_cvt_f32_i32_e32 v193, v193                               // 000000021790: 7F820BC1
	v_cvt_f32_i32_e32 v194, v194                               // 000000021794: 7F840BC2
	v_cvt_f32_i32_e32 v195, v195                               // 000000021798: 7F860BC3
	v_cvt_f32_i32_e32 v196, v196                               // 00000002179C: 7F880BC4
	v_cvt_f32_i32_e32 v197, v197                               // 0000000217A0: 7F8A0BC5
	v_cvt_f32_i32_e32 v198, v198                               // 0000000217A4: 7F8C0BC6
	v_cvt_f32_i32_e32 v199, v199                               // 0000000217A8: 7F8E0BC7
	v_mul_f32_e32 v192, v46, v192                              // 0000000217AC: 0B81812E
	v_mul_f32_e32 v193, v46, v193                              // 0000000217B0: 0B83832E
	v_mul_f32_e32 v194, v46, v194                              // 0000000217B4: 0B85852E
	v_mul_f32_e32 v195, v46, v195                              // 0000000217B8: 0B87872E
	v_mul_f32_e32 v196, v46, v196                              // 0000000217BC: 0B89892E
	v_mul_f32_e32 v197, v46, v197                              // 0000000217C0: 0B8B8B2E
	v_mul_f32_e32 v198, v46, v198                              // 0000000217C4: 0B8D8D2E
	v_mul_f32_e32 v199, v46, v199                              // 0000000217C8: 0B8F8F2E
	s_waitcnt lgkmcnt(0)                                       // 0000000217CC: BF8CC07F
	v_max3_f32 v48, v64, v65, v48                              // 0000000217D0: D1D30030 04C28340
	v_max3_f32 v48, v66, v67, v48                              // 0000000217D8: D1D30030 04C28742
	v_max3_f32 v48, v68, v69, v48                              // 0000000217E0: D1D30030 04C28B44
	v_max3_f32 v48, v70, v71, v48                              // 0000000217E8: D1D30030 04C28F46
	v_max3_f32 v48, v72, v73, v48                              // 0000000217F0: D1D30030 04C29348
	v_max3_f32 v48, v74, v75, v48                              // 0000000217F8: D1D30030 04C2974A
	v_max3_f32 v48, v76, v77, v48                              // 000000021800: D1D30030 04C29B4C
	v_max3_f32 v48, v78, v79, v48                              // 000000021808: D1D30030 04C29F4E
	v_mov_b32_e32 v64, 0xff800000                              // 000000021810: 7E8002FF FF800000
	v_cmp_eq_u32_e64 s[40:41], v64, v13                        // 000000021818: D0CA0028 00021B40
	s_nop 1                                                    // 000000021820: BF800001
	v_max_f32_e32 v15, v48, v13                                // 000000021824: 161E1B30
	v_mul_f32_e32 v53, s64, v15                                // 000000021828: 0A6A1E40
	v_fma_f32 v144, v144, s64, -v53                            // 00000002182C: D1CB0090 84D48190
	v_fma_f32 v145, v145, s64, -v53                            // 000000021834: D1CB0091 84D48191
	v_fma_f32 v146, v146, s64, -v53                            // 00000002183C: D1CB0092 84D48192
	v_fma_f32 v147, v147, s64, -v53                            // 000000021844: D1CB0093 84D48193
	v_fma_f32 v148, v148, s64, -v53                            // 00000002184C: D1CB0094 84D48194
	v_fma_f32 v149, v149, s64, -v53                            // 000000021854: D1CB0095 84D48195
	v_fma_f32 v150, v150, s64, -v53                            // 00000002185C: D1CB0096 84D48196
	v_fma_f32 v151, v151, s64, -v53                            // 000000021864: D1CB0097 84D48197
	v_fma_f32 v152, v152, s64, -v53                            // 00000002186C: D1CB0098 84D48198
	v_fma_f32 v153, v153, s64, -v53                            // 000000021874: D1CB0099 84D48199
	v_fma_f32 v154, v154, s64, -v53                            // 00000002187C: D1CB009A 84D4819A
	v_fma_f32 v155, v155, s64, -v53                            // 000000021884: D1CB009B 84D4819B
	v_fma_f32 v156, v156, s64, -v53                            // 00000002188C: D1CB009C 84D4819C
	v_fma_f32 v157, v157, s64, -v53                            // 000000021894: D1CB009D 84D4819D
	v_fma_f32 v158, v158, s64, -v53                            // 00000002189C: D1CB009E 84D4819E
	v_fma_f32 v159, v159, s64, -v53                            // 0000000218A4: D1CB009F 84D4819F
	v_exp_f32_e32 v144, v144                                   // 0000000218AC: 7F204190
	v_exp_f32_e32 v145, v145                                   // 0000000218B0: 7F224191
	v_exp_f32_e32 v146, v146                                   // 0000000218B4: 7F244192
	v_exp_f32_e32 v147, v147                                   // 0000000218B8: 7F264193
	v_exp_f32_e32 v148, v148                                   // 0000000218BC: 7F284194
	v_exp_f32_e32 v149, v149                                   // 0000000218C0: 7F2A4195
	v_exp_f32_e32 v150, v150                                   // 0000000218C4: 7F2C4196
	v_exp_f32_e32 v151, v151                                   // 0000000218C8: 7F2E4197
	v_exp_f32_e32 v152, v152                                   // 0000000218CC: 7F304198
	v_exp_f32_e32 v153, v153                                   // 0000000218D0: 7F324199
	v_exp_f32_e32 v154, v154                                   // 0000000218D4: 7F34419A
	v_exp_f32_e32 v155, v155                                   // 0000000218D8: 7F36419B
	v_exp_f32_e32 v156, v156                                   // 0000000218DC: 7F38419C
	v_exp_f32_e32 v157, v157                                   // 0000000218E0: 7F3A419D
	v_exp_f32_e32 v158, v158                                   // 0000000218E4: 7F3C419E
	v_exp_f32_e32 v159, v159                                   // 0000000218E8: 7F3E419F
	v_mul_f32_dpp v240, v252, v144 quad_perm:[0,0,0,0] row_mask:0xf bank_mask:0xf// 0000000218EC: 0BE120FA FF0000FC
	v_mul_f32_dpp v241, v252, v145 quad_perm:[1,1,1,1] row_mask:0xf bank_mask:0xf// 0000000218F4: 0BE322FA FF0055FC
	v_mul_f32_dpp v242, v252, v146 quad_perm:[2,2,2,2] row_mask:0xf bank_mask:0xf// 0000000218FC: 0BE524FA FF00AAFC
	v_mul_f32_dpp v243, v252, v147 quad_perm:[3,3,3,3] row_mask:0xf bank_mask:0xf// 000000021904: 0BE726FA FF00FFFC
	v_mul_f32_dpp v244, v253, v148 quad_perm:[0,0,0,0] row_mask:0xf bank_mask:0xf// 00000002190C: 0BE928FA FF0000FD
	v_mul_f32_dpp v245, v253, v149 quad_perm:[1,1,1,1] row_mask:0xf bank_mask:0xf// 000000021914: 0BEB2AFA FF0055FD
	v_mul_f32_dpp v246, v253, v150 quad_perm:[2,2,2,2] row_mask:0xf bank_mask:0xf// 00000002191C: 0BED2CFA FF00AAFD
	v_mul_f32_dpp v247, v253, v151 quad_perm:[3,3,3,3] row_mask:0xf bank_mask:0xf// 000000021924: 0BEF2EFA FF00FFFD
	v_mul_f32_dpp v248, v254, v152 quad_perm:[0,0,0,0] row_mask:0xf bank_mask:0xf// 00000002192C: 0BF130FA FF0000FE
	v_mul_f32_dpp v249, v254, v153 quad_perm:[1,1,1,1] row_mask:0xf bank_mask:0xf// 000000021934: 0BF332FA FF0055FE
	v_mul_f32_dpp v250, v254, v154 quad_perm:[2,2,2,2] row_mask:0xf bank_mask:0xf// 00000002193C: 0BF534FA FF00AAFE
	v_mul_f32_dpp v251, v254, v155 quad_perm:[3,3,3,3] row_mask:0xf bank_mask:0xf// 000000021944: 0BF736FA FF00FFFE
	v_mul_f32_dpp v252, v255, v156 quad_perm:[0,0,0,0] row_mask:0xf bank_mask:0xf// 00000002194C: 0BF938FA FF0000FF
	v_mul_f32_dpp v253, v255, v157 quad_perm:[1,1,1,1] row_mask:0xf bank_mask:0xf// 000000021954: 0BFB3AFA FF0055FF
	v_mul_f32_dpp v254, v255, v158 quad_perm:[2,2,2,2] row_mask:0xf bank_mask:0xf// 00000002195C: 0BFD3CFA FF00AAFF
	v_mul_f32_dpp v255, v255, v159 quad_perm:[3,3,3,3] row_mask:0xf bank_mask:0xf// 000000021964: 0BFF3EFA FF00FFFF
	v_mov_b32_e32 v48, 0x358637bd                              // 00000002196C: 7E6002FF 358637BD
	v_max3_f32 v48, |v240|, |v241|, v48                        // 000000021974: D1D30330 04C3E3F0
	v_max3_f32 v48, |v242|, |v243|, v48                        // 00000002197C: D1D30330 04C3E7F2
	v_max3_f32 v48, |v244|, |v245|, v48                        // 000000021984: D1D30330 04C3EBF4
	v_max3_f32 v48, |v246|, |v247|, v48                        // 00000002198C: D1D30330 04C3EFF6
	v_max3_f32 v48, |v248|, |v249|, v48                        // 000000021994: D1D30330 04C3F3F8
	v_max3_f32 v48, |v250|, |v251|, v48                        // 00000002199C: D1D30330 04C3F7FA
	v_max3_f32 v48, |v252|, |v253|, v48                        // 0000000219A4: D1D30330 04C3FBFC
	v_max3_f32 v48, |v254|, |v255|, v48                        // 0000000219AC: D1D30330 04C3FFFE
	ds_write_b32 v8, v48 offset:20992                          // 0000000219B4: D81A5200 00003008
	v_sub_f32_e32 v51, v13, v15                                // 0000000219BC: 04661F0D
	v_cndmask_b32_e64 v51, v51, 0, s[40:41]                    // 0000000219C0: D1000033 00A10133
	v_mov_b32_e32 v13, v15                                     // 0000000219C8: 7E1A030F
	v_mul_f32_e32 v51, s64, v51                                // 0000000219CC: 0A666640
	v_exp_f32_e32 v51, v51                                     // 0000000219D0: 7E664133
	s_waitcnt lgkmcnt(0)                                       // 0000000219D4: BF8CC07F
	s_barrier                                                  // 0000000219D8: BF8A0000
	ds_read_b32 v64, v7 offset:20992                           // 0000000219DC: D86C5200 40000007
	ds_read_b32 v65, v7 offset:21056                           // 0000000219E4: D86C5240 41000007
	ds_read_b32 v66, v7 offset:21120                           // 0000000219EC: D86C5280 42000007
	ds_read_b32 v67, v7 offset:21184                           // 0000000219F4: D86C52C0 43000007
	ds_read_b32 v68, v7 offset:21248                           // 0000000219FC: D86C5300 44000007
	ds_read_b32 v69, v7 offset:21312                           // 000000021A04: D86C5340 45000007
	ds_read_b32 v70, v7 offset:21376                           // 000000021A0C: D86C5380 46000007
	ds_read_b32 v71, v7 offset:21440                           // 000000021A14: D86C53C0 47000007
	ds_read_b32 v72, v7 offset:21504                           // 000000021A1C: D86C5400 48000007
	ds_read_b32 v73, v7 offset:21568                           // 000000021A24: D86C5440 49000007
	ds_read_b32 v74, v7 offset:21632                           // 000000021A2C: D86C5480 4A000007
	ds_read_b32 v75, v7 offset:21696                           // 000000021A34: D86C54C0 4B000007
	ds_read_b32 v76, v7 offset:21760                           // 000000021A3C: D86C5500 4C000007
	ds_read_b32 v77, v7 offset:21824                           // 000000021A44: D86C5540 4D000007
	ds_read_b32 v78, v7 offset:21888                           // 000000021A4C: D86C5580 4E000007
	ds_read_b32 v79, v7 offset:21952                           // 000000021A54: D86C55C0 4F000007
	v_mul_f32_e32 v40, v51, v40                                // 000000021A5C: 0A505133
	v_mov_b32_e32 v15, v144                                    // 000000021A60: 7E1E0390
	v_add_f32_e32 v15, v145, v15                               // 000000021A64: 021E1F91
	v_add_f32_e32 v15, v146, v15                               // 000000021A68: 021E1F92
	v_add_f32_e32 v15, v147, v15                               // 000000021A6C: 021E1F93
	v_add_f32_e32 v15, v148, v15                               // 000000021A70: 021E1F94
	v_add_f32_e32 v15, v149, v15                               // 000000021A74: 021E1F95
	v_add_f32_e32 v15, v150, v15                               // 000000021A78: 021E1F96
	v_add_f32_e32 v15, v151, v15                               // 000000021A7C: 021E1F97
	v_add_f32_e32 v15, v152, v15                               // 000000021A80: 021E1F98
	v_add_f32_e32 v15, v153, v15                               // 000000021A84: 021E1F99
	v_add_f32_e32 v15, v154, v15                               // 000000021A88: 021E1F9A
	v_add_f32_e32 v15, v155, v15                               // 000000021A8C: 021E1F9B
	v_add_f32_e32 v15, v156, v15                               // 000000021A90: 021E1F9C
	v_add_f32_e32 v15, v157, v15                               // 000000021A94: 021E1F9D
	v_add_f32_e32 v15, v158, v15                               // 000000021A98: 021E1F9E
	v_add_f32_e32 v15, v159, v15                               // 000000021A9C: 021E1F9F
	v_add_f32_e32 v40, v15, v40                                // 000000021AA0: 0250510F
	s_waitcnt lgkmcnt(0)                                       // 000000021AA4: BF8CC07F
	v_max3_f32 v48, |v64|, |v65|, v48                          // 000000021AA8: D1D30330 04C28340
	v_max3_f32 v48, |v66|, |v67|, v48                          // 000000021AB0: D1D30330 04C28742
	v_max3_f32 v48, |v68|, |v69|, v48                          // 000000021AB8: D1D30330 04C28B44
	v_max3_f32 v48, |v70|, |v71|, v48                          // 000000021AC0: D1D30330 04C28F46
	v_max3_f32 v48, |v72|, |v73|, v48                          // 000000021AC8: D1D30330 04C29348
	v_max3_f32 v48, |v74|, |v75|, v48                          // 000000021AD0: D1D30330 04C2974A
	v_max3_f32 v48, |v76|, |v77|, v48                          // 000000021AD8: D1D30330 04C29B4C
	v_max3_f32 v48, |v78|, |v79|, v48                          // 000000021AE0: D1D30330 04C29F4E
	s_nop 2                                                    // 000000021AE8: BF800002
	v_rcp_f32_e32 v48, v48                                     // 000000021AEC: 7E604530
	s_nop 1                                                    // 000000021AF0: BF800001
	v_mul_f32_e32 v48, 0x42fe0000, v48                         // 000000021AF4: 0A6060FF 42FE0000
	v_mul_f32_e32 v144, v48, v240                              // 000000021AFC: 0B21E130
	v_mul_f32_e32 v145, v48, v241                              // 000000021B00: 0B23E330
	v_mul_f32_e32 v146, v48, v242                              // 000000021B04: 0B25E530
	v_mul_f32_e32 v147, v48, v243                              // 000000021B08: 0B27E730
	v_mul_f32_e32 v148, v48, v244                              // 000000021B0C: 0B29E930
	v_mul_f32_e32 v149, v48, v245                              // 000000021B10: 0B2BEB30
	v_mul_f32_e32 v150, v48, v246                              // 000000021B14: 0B2DED30
	v_mul_f32_e32 v151, v48, v247                              // 000000021B18: 0B2FEF30
	v_mul_f32_e32 v152, v48, v248                              // 000000021B1C: 0B31F130
	v_mul_f32_e32 v153, v48, v249                              // 000000021B20: 0B33F330
	v_mul_f32_e32 v154, v48, v250                              // 000000021B24: 0B35F530
	v_mul_f32_e32 v155, v48, v251                              // 000000021B28: 0B37F730
	v_mul_f32_e32 v156, v48, v252                              // 000000021B2C: 0B39F930
	v_mul_f32_e32 v157, v48, v253                              // 000000021B30: 0B3BFB30
	v_mul_f32_e32 v158, v48, v254                              // 000000021B34: 0B3DFD30
	v_mul_f32_e32 v159, v48, v255                              // 000000021B38: 0B3FFF30
	v_cvt_i32_f32_e32 v144, v144                               // 000000021B3C: 7F201190
	v_cvt_i32_f32_e32 v145, v145                               // 000000021B40: 7F221191
	v_cvt_i32_f32_e32 v146, v146                               // 000000021B44: 7F241192
	v_cvt_i32_f32_e32 v147, v147                               // 000000021B48: 7F261193
	v_cvt_i32_f32_e32 v148, v148                               // 000000021B4C: 7F281194
	v_cvt_i32_f32_e32 v149, v149                               // 000000021B50: 7F2A1195
	v_cvt_i32_f32_e32 v150, v150                               // 000000021B54: 7F2C1196
	v_cvt_i32_f32_e32 v151, v151                               // 000000021B58: 7F2E1197
	v_cvt_i32_f32_e32 v152, v152                               // 000000021B5C: 7F301198
	v_cvt_i32_f32_e32 v153, v153                               // 000000021B60: 7F321199
	v_cvt_i32_f32_e32 v154, v154                               // 000000021B64: 7F34119A
	v_cvt_i32_f32_e32 v155, v155                               // 000000021B68: 7F36119B
	v_cvt_i32_f32_e32 v156, v156                               // 000000021B6C: 7F38119C
	v_cvt_i32_f32_e32 v157, v157                               // 000000021B70: 7F3A119D
	v_cvt_i32_f32_e32 v158, v158                               // 000000021B74: 7F3C119E
	v_cvt_i32_f32_e32 v159, v159                               // 000000021B78: 7F3E119F
	v_perm_b32 v144, v145, v144, s53                           // 000000021B7C: D1ED0090 00D72191
	v_perm_b32 v144, v146, v144, s54                           // 000000021B84: D1ED0090 00DB2192
	v_perm_b32 v144, v147, v144, s55                           // 000000021B8C: D1ED0090 00DF2193
	v_perm_b32 v145, v149, v148, s53                           // 000000021B94: D1ED0091 00D72995
	v_perm_b32 v145, v150, v145, s54                           // 000000021B9C: D1ED0091 00DB2396
	v_perm_b32 v145, v151, v145, s55                           // 000000021BA4: D1ED0091 00DF2397
	v_perm_b32 v146, v153, v152, s53                           // 000000021BAC: D1ED0092 00D73199
	v_perm_b32 v146, v154, v146, s54                           // 000000021BB4: D1ED0092 00DB259A
	v_perm_b32 v146, v155, v146, s55                           // 000000021BBC: D1ED0092 00DF259B
	v_perm_b32 v147, v157, v156, s53                           // 000000021BC4: D1ED0093 00D7399D
	v_perm_b32 v147, v158, v147, s54                           // 000000021BCC: D1ED0093 00DB279E
	v_perm_b32 v147, v159, v147, s55                           // 000000021BD4: D1ED0093 00DF279F
	ds_write_b32 v10, v144 offset:33280                        // 000000021BDC: D81A8200 0000900A
	ds_write_b32 v10, v145 offset:34304                        // 000000021BE4: D81A8600 0000910A
	ds_write_b32 v10, v146 offset:35328                        // 000000021BEC: D81A8A00 0000920A
	ds_write_b32 v10, v147 offset:36352                        // 000000021BF4: D81A8E00 0000930A
	v_add_f32_e32 v224, v224, v192                             // 000000021BFC: 03C181E0
	v_add_f32_e32 v225, v225, v193                             // 000000021C00: 03C383E1
	v_add_f32_e32 v226, v226, v194                             // 000000021C04: 03C585E2
	v_add_f32_e32 v227, v227, v195                             // 000000021C08: 03C787E3
	v_add_f32_e32 v228, v228, v196                             // 000000021C0C: 03C989E4
	v_add_f32_e32 v229, v229, v197                             // 000000021C10: 03CB8BE5
	v_add_f32_e32 v230, v230, v198                             // 000000021C14: 03CD8DE6
	v_add_f32_e32 v231, v231, v199                             // 000000021C18: 03CF8FE7
	v_rcp_f32_e32 v46, v48                                     // 000000021C1C: 7E5C4530
	s_waitcnt lgkmcnt(0)                                       // 000000021C20: BF8CC07F
	s_barrier                                                  // 000000021C24: BF8A0000
	ds_read_b64 v[144:145], v9 offset:33280                    // 000000021C28: D8EC8200 90000009
	ds_read_b64 v[146:147], v9 offset:33408                    // 000000021C30: D8EC8280 92000009
	ds_read_b64 v[148:149], v9 offset:34304                    // 000000021C38: D8EC8600 94000009
	ds_read_b64 v[150:151], v9 offset:34432                    // 000000021C40: D8EC8680 96000009
	ds_read_b64 v[152:153], v9 offset:35328                    // 000000021C48: D8EC8A00 98000009
	ds_read_b64 v[154:155], v9 offset:35456                    // 000000021C50: D8EC8A80 9A000009
	ds_read_b64 v[156:157], v9 offset:36352                    // 000000021C58: D8EC8E00 9C000009
	ds_read_b64 v[158:159], v9 offset:36480                    // 000000021C60: D8EC8E80 9E000009
	v_mov_b32_dpp v64, v42 row_shr:4 row_mask:0xf bank_mask:0xf// 000000021C68: 7E8002FA FF01142A
	v_mov_b32_dpp v65, v42 row_shl:4 row_mask:0xf bank_mask:0xf// 000000021C70: 7E8202FA FF01042A
	v_cndmask_b32_e64 v248, v42, v64, s[44:45]                 // 000000021C78: D10000F8 00B2812A
	v_cndmask_b32_e64 v249, v65, v42, s[44:45]                 // 000000021C80: D10000F9 00B25541
	v_mov_b32_dpp v64, v248 row_shr:8 row_mask:0xf bank_mask:0xf// 000000021C88: 7E8002FA FF0118F8
	v_mov_b32_dpp v65, v248 row_shl:8 row_mask:0xf bank_mask:0xf// 000000021C90: 7E8202FA FF0108F8
	v_mov_b32_dpp v66, v249 row_shr:8 row_mask:0xf bank_mask:0xf// 000000021C98: 7E8402FA FF0118F9
	v_mov_b32_dpp v67, v249 row_shl:8 row_mask:0xf bank_mask:0xf// 000000021CA0: 7E8602FA FF0108F9
	v_mov_b32_e32 v68, v248                                    // 000000021CA8: 7E8803F8
	v_mov_b32_e32 v69, v249                                    // 000000021CAC: 7E8A03F9
	v_cndmask_b32_e64 v248, v68, v64, s[42:43]                 // 000000021CB0: D10000F8 00AA8144
	v_cndmask_b32_e64 v250, v68, v65, s[78:79]                 // 000000021CB8: D10000FA 013A8344
	v_cndmask_b32_e64 v249, v69, v66, s[42:43]                 // 000000021CC0: D10000F9 00AA8545
	v_cndmask_b32_e64 v251, v69, v67, s[78:79]                 // 000000021CC8: D10000FB 013A8745
	v_mov_b32_dpp v64, v57 row_shr:4 row_mask:0xf bank_mask:0xf// 000000021CD0: 7E8002FA FF011439
	v_mov_b32_dpp v65, v57 row_shl:4 row_mask:0xf bank_mask:0xf// 000000021CD8: 7E8202FA FF010439
	v_cndmask_b32_e64 v252, v57, v64, s[44:45]                 // 000000021CE0: D10000FC 00B28139
	v_cndmask_b32_e64 v253, v65, v57, s[44:45]                 // 000000021CE8: D10000FD 00B27341
	v_mov_b32_dpp v64, v252 row_shr:8 row_mask:0xf bank_mask:0xf// 000000021CF0: 7E8002FA FF0118FC
	v_mov_b32_dpp v65, v252 row_shl:8 row_mask:0xf bank_mask:0xf// 000000021CF8: 7E8202FA FF0108FC
	v_mov_b32_dpp v66, v253 row_shr:8 row_mask:0xf bank_mask:0xf// 000000021D00: 7E8402FA FF0118FD
	v_mov_b32_dpp v67, v253 row_shl:8 row_mask:0xf bank_mask:0xf// 000000021D08: 7E8602FA FF0108FD
	v_mov_b32_e32 v68, v252                                    // 000000021D10: 7E8803FC
	v_mov_b32_e32 v69, v253                                    // 000000021D14: 7E8A03FD
	v_cndmask_b32_e64 v252, v68, v64, s[42:43]                 // 000000021D18: D10000FC 00AA8144
	v_cndmask_b32_e64 v254, v68, v65, s[78:79]                 // 000000021D20: D10000FE 013A8344
	v_cndmask_b32_e64 v253, v69, v66, s[42:43]                 // 000000021D28: D10000FD 00AA8545
	v_cndmask_b32_e64 v255, v69, v67, s[78:79]                 // 000000021D30: D10000FF 013A8745
	v_cvt_f32_i32_e32 v160, v160                               // 000000021D38: 7F400BA0
	v_cvt_f32_i32_e32 v161, v161                               // 000000021D3C: 7F420BA1
	v_cvt_f32_i32_e32 v162, v162                               // 000000021D40: 7F440BA2
	v_cvt_f32_i32_e32 v163, v163                               // 000000021D44: 7F460BA3
	v_cvt_f32_i32_e32 v164, v164                               // 000000021D48: 7F480BA4
	v_cvt_f32_i32_e32 v165, v165                               // 000000021D4C: 7F4A0BA5
	v_cvt_f32_i32_e32 v166, v166                               // 000000021D50: 7F4C0BA6
	v_cvt_f32_i32_e32 v167, v167                               // 000000021D54: 7F4E0BA7
	v_cvt_f32_i32_e32 v168, v168                               // 000000021D58: 7F500BA8
	v_cvt_f32_i32_e32 v169, v169                               // 000000021D5C: 7F520BA9
	v_cvt_f32_i32_e32 v170, v170                               // 000000021D60: 7F540BAA
	v_cvt_f32_i32_e32 v171, v171                               // 000000021D64: 7F560BAB
	v_cvt_f32_i32_e32 v172, v172                               // 000000021D68: 7F580BAC
	v_cvt_f32_i32_e32 v173, v173                               // 000000021D6C: 7F5A0BAD
	v_cvt_f32_i32_e32 v174, v174                               // 000000021D70: 7F5C0BAE
	v_cvt_f32_i32_e32 v175, v175                               // 000000021D74: 7F5E0BAF
	v_mul_f32_e32 v160, v21, v160                              // 000000021D78: 0B414115
	v_mul_f32_e32 v161, v21, v161                              // 000000021D7C: 0B434315
	v_mul_f32_e32 v162, v21, v162                              // 000000021D80: 0B454515
	v_mul_f32_e32 v163, v21, v163                              // 000000021D84: 0B474715
	v_mul_f32_e32 v164, v21, v164                              // 000000021D88: 0B494915
	v_mul_f32_e32 v165, v21, v165                              // 000000021D8C: 0B4B4B15
	v_mul_f32_e32 v166, v21, v166                              // 000000021D90: 0B4D4D15
	v_mul_f32_e32 v167, v21, v167                              // 000000021D94: 0B4F4F15
	v_mul_f32_e32 v168, v21, v168                              // 000000021D98: 0B515115
	v_mul_f32_e32 v169, v21, v169                              // 000000021D9C: 0B535315
	v_mul_f32_e32 v170, v21, v170                              // 000000021DA0: 0B555515
	v_mul_f32_e32 v171, v21, v171                              // 000000021DA4: 0B575715
	v_mul_f32_e32 v172, v21, v172                              // 000000021DA8: 0B595915
	v_mul_f32_e32 v173, v21, v173                              // 000000021DAC: 0B5B5B15
	v_mul_f32_e32 v174, v21, v174                              // 000000021DB0: 0B5D5D15
	v_mul_f32_e32 v175, v21, v175                              // 000000021DB4: 0B5F5F15
	v_mul_f32_dpp v160, v248, v160 quad_perm:[0,0,0,0] row_mask:0xf bank_mask:0xf// 000000021DB8: 0B4140FA FF0000F8
	v_mul_f32_dpp v161, v248, v161 quad_perm:[1,1,1,1] row_mask:0xf bank_mask:0xf// 000000021DC0: 0B4342FA FF0055F8
	v_mul_f32_dpp v162, v248, v162 quad_perm:[2,2,2,2] row_mask:0xf bank_mask:0xf// 000000021DC8: 0B4544FA FF00AAF8
	v_mul_f32_dpp v163, v248, v163 quad_perm:[3,3,3,3] row_mask:0xf bank_mask:0xf// 000000021DD0: 0B4746FA FF00FFF8
	v_mul_f32_dpp v164, v249, v164 quad_perm:[0,0,0,0] row_mask:0xf bank_mask:0xf// 000000021DD8: 0B4948FA FF0000F9
	v_mul_f32_dpp v165, v249, v165 quad_perm:[1,1,1,1] row_mask:0xf bank_mask:0xf// 000000021DE0: 0B4B4AFA FF0055F9
	v_mul_f32_dpp v166, v249, v166 quad_perm:[2,2,2,2] row_mask:0xf bank_mask:0xf// 000000021DE8: 0B4D4CFA FF00AAF9
	v_mul_f32_dpp v167, v249, v167 quad_perm:[3,3,3,3] row_mask:0xf bank_mask:0xf// 000000021DF0: 0B4F4EFA FF00FFF9
	v_mul_f32_dpp v168, v250, v168 quad_perm:[0,0,0,0] row_mask:0xf bank_mask:0xf// 000000021DF8: 0B5150FA FF0000FA
	v_mul_f32_dpp v169, v250, v169 quad_perm:[1,1,1,1] row_mask:0xf bank_mask:0xf// 000000021E00: 0B5352FA FF0055FA
	v_mul_f32_dpp v170, v250, v170 quad_perm:[2,2,2,2] row_mask:0xf bank_mask:0xf// 000000021E08: 0B5554FA FF00AAFA
	v_mul_f32_dpp v171, v250, v171 quad_perm:[3,3,3,3] row_mask:0xf bank_mask:0xf// 000000021E10: 0B5756FA FF00FFFA
	v_mul_f32_dpp v172, v251, v172 quad_perm:[0,0,0,0] row_mask:0xf bank_mask:0xf// 000000021E18: 0B5958FA FF0000FB
	v_mul_f32_dpp v173, v251, v173 quad_perm:[1,1,1,1] row_mask:0xf bank_mask:0xf// 000000021E20: 0B5B5AFA FF0055FB
	v_mul_f32_dpp v174, v251, v174 quad_perm:[2,2,2,2] row_mask:0xf bank_mask:0xf// 000000021E28: 0B5D5CFA FF00AAFB
	v_mul_f32_dpp v175, v251, v175 quad_perm:[3,3,3,3] row_mask:0xf bank_mask:0xf// 000000021E30: 0B5F5EFA FF00FFFB
	s_cmp_le_i32 s90, s89                                      // 000000021E38: BF05595A
	s_cbranch_scc1 label_7F81                                  // 000000021E3C: BF850071
	v_mov_b32_e32 v66, 0xff800000                              // 000000021E40: 7E8402FF FF800000
	s_mov_b32 s60, s90                                         // 000000021E48: BEBC005A
	s_add_u32 s61, s89, 0xff                                   // 000000021E4C: 803DFF59 000000FF
	v_mov_b32_e32 v64, s61                                     // 000000021E54: 7E80023D
	v_lshrrev_b32_e32 v240, 4, v0                              // 000000021E58: 21E00084
	v_mul_i32_i24_e32 v240, 4, v240                            // 000000021E5C: 0DE1E084
	v_add_u32_e32 v240, s60, v240                              // 000000021E60: 69E1E03C
	s_mov_b32 s61, 3                                           // 000000021E64: BEBD0083
	s_mul_i32 s60, 16, s7                                      // 000000021E68: 923C0790
	v_sub_u32_e64 v240, v240, s61                              // 000000021E6C: D13500F0 00007BF0
	v_add_u32_e32 v240, s60, v240                              // 000000021E74: 69E1E03C
	v_add_u32_e32 v241, 1, v240                                // 000000021E78: 69E3E081
	v_add_u32_e32 v242, 2, v240                                // 000000021E7C: 69E5E082
	v_add_u32_e32 v243, 3, v240                                // 000000021E80: 69E7E083
	v_cmp_le_u32_e64 s[40:41], v240, v64                       // 000000021E84: D0CB0028 000281F0
	v_add_u32_e32 v240, 64, v240                               // 000000021E8C: 69E1E0C0
	s_nop 0                                                    // 000000021E90: BF800000
	v_cndmask_b32_e64 v160, v66, v160, s[40:41]                // 000000021E94: D10000A0 00A34142
	v_cmp_le_u32_e64 s[40:41], v241, v64                       // 000000021E9C: D0CB0028 000281F1
	v_add_u32_e32 v241, 64, v241                               // 000000021EA4: 69E3E2C0
	s_nop 0                                                    // 000000021EA8: BF800000
	v_cndmask_b32_e64 v161, v66, v161, s[40:41]                // 000000021EAC: D10000A1 00A34342
	v_cmp_le_u32_e64 s[40:41], v242, v64                       // 000000021EB4: D0CB0028 000281F2
	v_add_u32_e32 v242, 64, v242                               // 000000021EBC: 69E5E4C0
	s_nop 0                                                    // 000000021EC0: BF800000
	v_cndmask_b32_e64 v162, v66, v162, s[40:41]                // 000000021EC4: D10000A2 00A34542
	v_cmp_le_u32_e64 s[40:41], v243, v64                       // 000000021ECC: D0CB0028 000281F3
	v_add_u32_e32 v243, 64, v243                               // 000000021ED4: 69E7E6C0
	s_nop 0                                                    // 000000021ED8: BF800000
	v_cndmask_b32_e64 v163, v66, v163, s[40:41]                // 000000021EDC: D10000A3 00A34742
	v_cmp_le_u32_e64 s[40:41], v240, v64                       // 000000021EE4: D0CB0028 000281F0
	v_add_u32_e32 v240, 64, v240                               // 000000021EEC: 69E1E0C0
	s_nop 0                                                    // 000000021EF0: BF800000
	v_cndmask_b32_e64 v164, v66, v164, s[40:41]                // 000000021EF4: D10000A4 00A34942
	v_cmp_le_u32_e64 s[40:41], v241, v64                       // 000000021EFC: D0CB0028 000281F1
	v_add_u32_e32 v241, 64, v241                               // 000000021F04: 69E3E2C0
	s_nop 0                                                    // 000000021F08: BF800000
	v_cndmask_b32_e64 v165, v66, v165, s[40:41]                // 000000021F0C: D10000A5 00A34B42
	v_cmp_le_u32_e64 s[40:41], v242, v64                       // 000000021F14: D0CB0028 000281F2
	v_add_u32_e32 v242, 64, v242                               // 000000021F1C: 69E5E4C0
	s_nop 0                                                    // 000000021F20: BF800000
	v_cndmask_b32_e64 v166, v66, v166, s[40:41]                // 000000021F24: D10000A6 00A34D42
	v_cmp_le_u32_e64 s[40:41], v243, v64                       // 000000021F2C: D0CB0028 000281F3
	v_add_u32_e32 v243, 64, v243                               // 000000021F34: 69E7E6C0
	s_nop 0                                                    // 000000021F38: BF800000
	v_cndmask_b32_e64 v167, v66, v167, s[40:41]                // 000000021F3C: D10000A7 00A34F42
	v_cmp_le_u32_e64 s[40:41], v240, v64                       // 000000021F44: D0CB0028 000281F0
	v_add_u32_e32 v240, 64, v240                               // 000000021F4C: 69E1E0C0
	s_nop 0                                                    // 000000021F50: BF800000
	v_cndmask_b32_e64 v168, v66, v168, s[40:41]                // 000000021F54: D10000A8 00A35142
	v_cmp_le_u32_e64 s[40:41], v241, v64                       // 000000021F5C: D0CB0028 000281F1
	v_add_u32_e32 v241, 64, v241                               // 000000021F64: 69E3E2C0
	s_nop 0                                                    // 000000021F68: BF800000
	v_cndmask_b32_e64 v169, v66, v169, s[40:41]                // 000000021F6C: D10000A9 00A35342
	v_cmp_le_u32_e64 s[40:41], v242, v64                       // 000000021F74: D0CB0028 000281F2
	v_add_u32_e32 v242, 64, v242                               // 000000021F7C: 69E5E4C0
	s_nop 0                                                    // 000000021F80: BF800000
	v_cndmask_b32_e64 v170, v66, v170, s[40:41]                // 000000021F84: D10000AA 00A35542
	v_cmp_le_u32_e64 s[40:41], v243, v64                       // 000000021F8C: D0CB0028 000281F3
	v_add_u32_e32 v243, 64, v243                               // 000000021F94: 69E7E6C0
	s_nop 0                                                    // 000000021F98: BF800000
	v_cndmask_b32_e64 v171, v66, v171, s[40:41]                // 000000021F9C: D10000AB 00A35742
	v_cmp_le_u32_e64 s[40:41], v240, v64                       // 000000021FA4: D0CB0028 000281F0
	v_add_u32_e32 v240, 64, v240                               // 000000021FAC: 69E1E0C0
	s_nop 0                                                    // 000000021FB0: BF800000
	v_cndmask_b32_e64 v172, v66, v172, s[40:41]                // 000000021FB4: D10000AC 00A35942
	v_cmp_le_u32_e64 s[40:41], v241, v64                       // 000000021FBC: D0CB0028 000281F1
	v_add_u32_e32 v241, 64, v241                               // 000000021FC4: 69E3E2C0
	s_nop 0                                                    // 000000021FC8: BF800000
	v_cndmask_b32_e64 v173, v66, v173, s[40:41]                // 000000021FCC: D10000AD 00A35B42
	v_cmp_le_u32_e64 s[40:41], v242, v64                       // 000000021FD4: D0CB0028 000281F2
	v_add_u32_e32 v242, 64, v242                               // 000000021FDC: 69E5E4C0
	s_nop 0                                                    // 000000021FE0: BF800000
	v_cndmask_b32_e64 v174, v66, v174, s[40:41]                // 000000021FE4: D10000AE 00A35D42
	v_cmp_le_u32_e64 s[40:41], v243, v64                       // 000000021FEC: D0CB0028 000281F3
	v_add_u32_e32 v243, 64, v243                               // 000000021FF4: 69E7E6C0
	s_nop 0                                                    // 000000021FF8: BF800000
	v_cndmask_b32_e64 v175, v66, v175, s[40:41]                // 000000021FFC: D10000AF 00A35F42

0000000000022004 <label_7F81>:
	s_add_u32 s90, s91, s90                                    // 000000022004: 805A5A5B
	v_mov_b32_e32 v48, v160                                    // 000000022008: 7E6003A0
	v_max3_f32 v48, v160, v161, v48                            // 00000002200C: D1D30030 04C343A0
	v_max3_f32 v48, v162, v163, v48                            // 000000022014: D1D30030 04C347A2
	v_max3_f32 v48, v164, v165, v48                            // 00000002201C: D1D30030 04C34BA4
	v_max3_f32 v48, v166, v167, v48                            // 000000022024: D1D30030 04C34FA6
	v_max3_f32 v48, v168, v169, v48                            // 00000002202C: D1D30030 04C353A8
	v_max3_f32 v48, v170, v171, v48                            // 000000022034: D1D30030 04C357AA
	v_max3_f32 v48, v172, v173, v48                            // 00000002203C: D1D30030 04C35BAC
	v_max3_f32 v48, v174, v175, v48                            // 000000022044: D1D30030 04C35FAE
	ds_write_b32 v8, v48 offset:16896                          // 00000002204C: D81A4200 00003008
	v_mul_f32_e32 v232, v52, v232                              // 000000022054: 0BD1D134
	v_mul_f32_e32 v233, v52, v233                              // 000000022058: 0BD3D334
	v_mul_f32_e32 v234, v52, v234                              // 00000002205C: 0BD5D534
	v_mul_f32_e32 v235, v52, v235                              // 000000022060: 0BD7D734
	v_mul_f32_e32 v236, v52, v236                              // 000000022064: 0BD9D934
	v_mul_f32_e32 v237, v52, v237                              // 000000022068: 0BDBDB34
	v_mul_f32_e32 v238, v52, v238                              // 00000002206C: 0BDDDD34
	v_mul_f32_e32 v239, v52, v239                              // 000000022070: 0BDFDF34
	s_waitcnt lgkmcnt(0)                                       // 000000022074: BF8CC07F
	s_barrier                                                  // 000000022078: BF8A0000
	ds_read_b32 v64, v7 offset:16896                           // 00000002207C: D86C4200 40000007
	ds_read_b32 v65, v7 offset:16960                           // 000000022084: D86C4240 41000007
	ds_read_b32 v66, v7 offset:17024                           // 00000002208C: D86C4280 42000007
	ds_read_b32 v67, v7 offset:17088                           // 000000022094: D86C42C0 43000007
	ds_read_b32 v68, v7 offset:17152                           // 00000002209C: D86C4300 44000007
	ds_read_b32 v69, v7 offset:17216                           // 0000000220A4: D86C4340 45000007
	ds_read_b32 v70, v7 offset:17280                           // 0000000220AC: D86C4380 46000007
	ds_read_b32 v71, v7 offset:17344                           // 0000000220B4: D86C43C0 47000007
	ds_read_b32 v72, v7 offset:17408                           // 0000000220BC: D86C4400 48000007
	ds_read_b32 v73, v7 offset:17472                           // 0000000220C4: D86C4440 49000007
	ds_read_b32 v74, v7 offset:17536                           // 0000000220CC: D86C4480 4A000007
	ds_read_b32 v75, v7 offset:17600                           // 0000000220D4: D86C44C0 4B000007
	ds_read_b32 v76, v7 offset:17664                           // 0000000220DC: D86C4500 4C000007
	ds_read_b32 v77, v7 offset:17728                           // 0000000220E4: D86C4540 4D000007
	ds_read_b32 v78, v7 offset:17792                           // 0000000220EC: D86C4580 4E000007
	ds_read_b32 v79, v7 offset:17856                           // 0000000220F4: D86C45C0 4F000007
	v_cvt_f32_i32_e32 v200, v200                               // 0000000220FC: 7F900BC8
	v_cvt_f32_i32_e32 v201, v201                               // 000000022100: 7F920BC9
	v_cvt_f32_i32_e32 v202, v202                               // 000000022104: 7F940BCA
	v_cvt_f32_i32_e32 v203, v203                               // 000000022108: 7F960BCB
	v_cvt_f32_i32_e32 v204, v204                               // 00000002210C: 7F980BCC
	v_cvt_f32_i32_e32 v205, v205                               // 000000022110: 7F9A0BCD
	v_cvt_f32_i32_e32 v206, v206                               // 000000022114: 7F9C0BCE
	v_cvt_f32_i32_e32 v207, v207                               // 000000022118: 7F9E0BCF
	v_mul_f32_e32 v200, v47, v200                              // 00000002211C: 0B91912F
	v_mul_f32_e32 v201, v47, v201                              // 000000022120: 0B93932F
	v_mul_f32_e32 v202, v47, v202                              // 000000022124: 0B95952F
	v_mul_f32_e32 v203, v47, v203                              // 000000022128: 0B97972F
	v_mul_f32_e32 v204, v47, v204                              // 00000002212C: 0B99992F
	v_mul_f32_e32 v205, v47, v205                              // 000000022130: 0B9B9B2F
	v_mul_f32_e32 v206, v47, v206                              // 000000022134: 0B9D9D2F
	v_mul_f32_e32 v207, v47, v207                              // 000000022138: 0B9F9F2F
	s_waitcnt lgkmcnt(0)                                       // 00000002213C: BF8CC07F
	v_max3_f32 v48, v64, v65, v48                              // 000000022140: D1D30030 04C28340
	v_max3_f32 v48, v66, v67, v48                              // 000000022148: D1D30030 04C28742
	v_max3_f32 v48, v68, v69, v48                              // 000000022150: D1D30030 04C28B44
	v_max3_f32 v48, v70, v71, v48                              // 000000022158: D1D30030 04C28F46
	v_max3_f32 v48, v72, v73, v48                              // 000000022160: D1D30030 04C29348
	v_max3_f32 v48, v74, v75, v48                              // 000000022168: D1D30030 04C2974A
	v_max3_f32 v48, v76, v77, v48                              // 000000022170: D1D30030 04C29B4C
	v_max3_f32 v48, v78, v79, v48                              // 000000022178: D1D30030 04C29F4E
	v_mov_b32_e32 v64, 0xff800000                              // 000000022180: 7E8002FF FF800000
	v_cmp_eq_u32_e64 s[40:41], v64, v14                        // 000000022188: D0CA0028 00021D40
	s_nop 1                                                    // 000000022190: BF800001
	v_max_f32_e32 v15, v48, v14                                // 000000022194: 161E1D30
	v_mul_f32_e32 v53, s64, v15                                // 000000022198: 0A6A1E40
	v_fma_f32 v160, v160, s64, -v53                            // 00000002219C: D1CB00A0 84D481A0
	v_fma_f32 v161, v161, s64, -v53                            // 0000000221A4: D1CB00A1 84D481A1
	v_fma_f32 v162, v162, s64, -v53                            // 0000000221AC: D1CB00A2 84D481A2
	v_fma_f32 v163, v163, s64, -v53                            // 0000000221B4: D1CB00A3 84D481A3
	v_fma_f32 v164, v164, s64, -v53                            // 0000000221BC: D1CB00A4 84D481A4
	v_fma_f32 v165, v165, s64, -v53                            // 0000000221C4: D1CB00A5 84D481A5
	v_fma_f32 v166, v166, s64, -v53                            // 0000000221CC: D1CB00A6 84D481A6
	v_fma_f32 v167, v167, s64, -v53                            // 0000000221D4: D1CB00A7 84D481A7
	v_fma_f32 v168, v168, s64, -v53                            // 0000000221DC: D1CB00A8 84D481A8
	v_fma_f32 v169, v169, s64, -v53                            // 0000000221E4: D1CB00A9 84D481A9
	v_fma_f32 v170, v170, s64, -v53                            // 0000000221EC: D1CB00AA 84D481AA
	v_fma_f32 v171, v171, s64, -v53                            // 0000000221F4: D1CB00AB 84D481AB
	v_fma_f32 v172, v172, s64, -v53                            // 0000000221FC: D1CB00AC 84D481AC
	v_fma_f32 v173, v173, s64, -v53                            // 000000022204: D1CB00AD 84D481AD
	v_fma_f32 v174, v174, s64, -v53                            // 00000002220C: D1CB00AE 84D481AE
	v_fma_f32 v175, v175, s64, -v53                            // 000000022214: D1CB00AF 84D481AF
	v_exp_f32_e32 v160, v160                                   // 00000002221C: 7F4041A0
	v_exp_f32_e32 v161, v161                                   // 000000022220: 7F4241A1
	v_exp_f32_e32 v162, v162                                   // 000000022224: 7F4441A2
	v_exp_f32_e32 v163, v163                                   // 000000022228: 7F4641A3
	v_exp_f32_e32 v164, v164                                   // 00000002222C: 7F4841A4
	v_exp_f32_e32 v165, v165                                   // 000000022230: 7F4A41A5
	v_exp_f32_e32 v166, v166                                   // 000000022234: 7F4C41A6
	v_exp_f32_e32 v167, v167                                   // 000000022238: 7F4E41A7
	v_exp_f32_e32 v168, v168                                   // 00000002223C: 7F5041A8
	v_exp_f32_e32 v169, v169                                   // 000000022240: 7F5241A9
	v_exp_f32_e32 v170, v170                                   // 000000022244: 7F5441AA
	v_exp_f32_e32 v171, v171                                   // 000000022248: 7F5641AB
	v_exp_f32_e32 v172, v172                                   // 00000002224C: 7F5841AC
	v_exp_f32_e32 v173, v173                                   // 000000022250: 7F5A41AD
	v_exp_f32_e32 v174, v174                                   // 000000022254: 7F5C41AE
	v_exp_f32_e32 v175, v175                                   // 000000022258: 7F5E41AF
	v_mul_f32_dpp v240, v252, v160 quad_perm:[0,0,0,0] row_mask:0xf bank_mask:0xf// 00000002225C: 0BE140FA FF0000FC
	v_mul_f32_dpp v241, v252, v161 quad_perm:[1,1,1,1] row_mask:0xf bank_mask:0xf// 000000022264: 0BE342FA FF0055FC
	v_mul_f32_dpp v242, v252, v162 quad_perm:[2,2,2,2] row_mask:0xf bank_mask:0xf// 00000002226C: 0BE544FA FF00AAFC
	v_mul_f32_dpp v243, v252, v163 quad_perm:[3,3,3,3] row_mask:0xf bank_mask:0xf// 000000022274: 0BE746FA FF00FFFC
	v_mul_f32_dpp v244, v253, v164 quad_perm:[0,0,0,0] row_mask:0xf bank_mask:0xf// 00000002227C: 0BE948FA FF0000FD
	v_mul_f32_dpp v245, v253, v165 quad_perm:[1,1,1,1] row_mask:0xf bank_mask:0xf// 000000022284: 0BEB4AFA FF0055FD
	v_mul_f32_dpp v246, v253, v166 quad_perm:[2,2,2,2] row_mask:0xf bank_mask:0xf// 00000002228C: 0BED4CFA FF00AAFD
	v_mul_f32_dpp v247, v253, v167 quad_perm:[3,3,3,3] row_mask:0xf bank_mask:0xf// 000000022294: 0BEF4EFA FF00FFFD
	v_mul_f32_dpp v248, v254, v168 quad_perm:[0,0,0,0] row_mask:0xf bank_mask:0xf// 00000002229C: 0BF150FA FF0000FE
	v_mul_f32_dpp v249, v254, v169 quad_perm:[1,1,1,1] row_mask:0xf bank_mask:0xf// 0000000222A4: 0BF352FA FF0055FE
	v_mul_f32_dpp v250, v254, v170 quad_perm:[2,2,2,2] row_mask:0xf bank_mask:0xf// 0000000222AC: 0BF554FA FF00AAFE
	v_mul_f32_dpp v251, v254, v171 quad_perm:[3,3,3,3] row_mask:0xf bank_mask:0xf// 0000000222B4: 0BF756FA FF00FFFE
	v_mul_f32_dpp v252, v255, v172 quad_perm:[0,0,0,0] row_mask:0xf bank_mask:0xf// 0000000222BC: 0BF958FA FF0000FF
	v_mul_f32_dpp v253, v255, v173 quad_perm:[1,1,1,1] row_mask:0xf bank_mask:0xf// 0000000222C4: 0BFB5AFA FF0055FF
	v_mul_f32_dpp v254, v255, v174 quad_perm:[2,2,2,2] row_mask:0xf bank_mask:0xf// 0000000222CC: 0BFD5CFA FF00AAFF
	v_mul_f32_dpp v255, v255, v175 quad_perm:[3,3,3,3] row_mask:0xf bank_mask:0xf// 0000000222D4: 0BFF5EFA FF00FFFF
	v_mov_b32_e32 v48, 0x358637bd                              // 0000000222DC: 7E6002FF 358637BD
	v_max3_f32 v48, |v240|, |v241|, v48                        // 0000000222E4: D1D30330 04C3E3F0
	v_max3_f32 v48, |v242|, |v243|, v48                        // 0000000222EC: D1D30330 04C3E7F2
	v_max3_f32 v48, |v244|, |v245|, v48                        // 0000000222F4: D1D30330 04C3EBF4
	v_max3_f32 v48, |v246|, |v247|, v48                        // 0000000222FC: D1D30330 04C3EFF6
	v_max3_f32 v48, |v248|, |v249|, v48                        // 000000022304: D1D30330 04C3F3F8
	v_max3_f32 v48, |v250|, |v251|, v48                        // 00000002230C: D1D30330 04C3F7FA
	v_max3_f32 v48, |v252|, |v253|, v48                        // 000000022314: D1D30330 04C3FBFC
	v_max3_f32 v48, |v254|, |v255|, v48                        // 00000002231C: D1D30330 04C3FFFE
	ds_write_b32 v8, v48 offset:20992                          // 000000022324: D81A5200 00003008
	v_sub_f32_e32 v52, v14, v15                                // 00000002232C: 04681F0E
	v_cndmask_b32_e64 v52, v52, 0, s[40:41]                    // 000000022330: D1000034 00A10134
	v_mov_b32_e32 v14, v15                                     // 000000022338: 7E1C030F
	v_mul_f32_e32 v52, s64, v52                                // 00000002233C: 0A686840
	v_exp_f32_e32 v52, v52                                     // 000000022340: 7E684134
	s_waitcnt lgkmcnt(0)                                       // 000000022344: BF8CC07F
	s_barrier                                                  // 000000022348: BF8A0000
	ds_read_b32 v64, v7 offset:20992                           // 00000002234C: D86C5200 40000007
	ds_read_b32 v65, v7 offset:21056                           // 000000022354: D86C5240 41000007
	ds_read_b32 v66, v7 offset:21120                           // 00000002235C: D86C5280 42000007
	ds_read_b32 v67, v7 offset:21184                           // 000000022364: D86C52C0 43000007
	ds_read_b32 v68, v7 offset:21248                           // 00000002236C: D86C5300 44000007
	ds_read_b32 v69, v7 offset:21312                           // 000000022374: D86C5340 45000007
	ds_read_b32 v70, v7 offset:21376                           // 00000002237C: D86C5380 46000007
	ds_read_b32 v71, v7 offset:21440                           // 000000022384: D86C53C0 47000007
	ds_read_b32 v72, v7 offset:21504                           // 00000002238C: D86C5400 48000007
	ds_read_b32 v73, v7 offset:21568                           // 000000022394: D86C5440 49000007
	ds_read_b32 v74, v7 offset:21632                           // 00000002239C: D86C5480 4A000007
	ds_read_b32 v75, v7 offset:21696                           // 0000000223A4: D86C54C0 4B000007
	ds_read_b32 v76, v7 offset:21760                           // 0000000223AC: D86C5500 4C000007
	ds_read_b32 v77, v7 offset:21824                           // 0000000223B4: D86C5540 4D000007
	ds_read_b32 v78, v7 offset:21888                           // 0000000223BC: D86C5580 4E000007
	ds_read_b32 v79, v7 offset:21952                           // 0000000223C4: D86C55C0 4F000007
	v_mul_f32_e32 v41, v52, v41                                // 0000000223CC: 0A525334
	v_mov_b32_e32 v15, v160                                    // 0000000223D0: 7E1E03A0
	v_add_f32_e32 v15, v161, v15                               // 0000000223D4: 021E1FA1
	v_add_f32_e32 v15, v162, v15                               // 0000000223D8: 021E1FA2
	v_add_f32_e32 v15, v163, v15                               // 0000000223DC: 021E1FA3
	v_add_f32_e32 v15, v164, v15                               // 0000000223E0: 021E1FA4
	v_add_f32_e32 v15, v165, v15                               // 0000000223E4: 021E1FA5
	v_add_f32_e32 v15, v166, v15                               // 0000000223E8: 021E1FA6
	v_add_f32_e32 v15, v167, v15                               // 0000000223EC: 021E1FA7
	v_add_f32_e32 v15, v168, v15                               // 0000000223F0: 021E1FA8
	v_add_f32_e32 v15, v169, v15                               // 0000000223F4: 021E1FA9
	v_add_f32_e32 v15, v170, v15                               // 0000000223F8: 021E1FAA
	v_add_f32_e32 v15, v171, v15                               // 0000000223FC: 021E1FAB
	v_add_f32_e32 v15, v172, v15                               // 000000022400: 021E1FAC
	v_add_f32_e32 v15, v173, v15                               // 000000022404: 021E1FAD
	v_add_f32_e32 v15, v174, v15                               // 000000022408: 021E1FAE
	v_add_f32_e32 v15, v175, v15                               // 00000002240C: 021E1FAF
	v_add_f32_e32 v41, v15, v41                                // 000000022410: 0252530F
	s_waitcnt lgkmcnt(0)                                       // 000000022414: BF8CC07F
	v_max3_f32 v48, |v64|, |v65|, v48                          // 000000022418: D1D30330 04C28340
	v_max3_f32 v48, |v66|, |v67|, v48                          // 000000022420: D1D30330 04C28742
	v_max3_f32 v48, |v68|, |v69|, v48                          // 000000022428: D1D30330 04C28B44
	v_max3_f32 v48, |v70|, |v71|, v48                          // 000000022430: D1D30330 04C28F46
	v_max3_f32 v48, |v72|, |v73|, v48                          // 000000022438: D1D30330 04C29348
	v_max3_f32 v48, |v74|, |v75|, v48                          // 000000022440: D1D30330 04C2974A
	v_max3_f32 v48, |v76|, |v77|, v48                          // 000000022448: D1D30330 04C29B4C
	v_max3_f32 v48, |v78|, |v79|, v48                          // 000000022450: D1D30330 04C29F4E
	s_nop 2                                                    // 000000022458: BF800002
	v_rcp_f32_e32 v48, v48                                     // 00000002245C: 7E604530
	s_nop 1                                                    // 000000022460: BF800001
	v_mul_f32_e32 v48, 0x42fe0000, v48                         // 000000022464: 0A6060FF 42FE0000
	v_mul_f32_e32 v160, v48, v240                              // 00000002246C: 0B41E130
	v_mul_f32_e32 v161, v48, v241                              // 000000022470: 0B43E330
	v_mul_f32_e32 v162, v48, v242                              // 000000022474: 0B45E530
	v_mul_f32_e32 v163, v48, v243                              // 000000022478: 0B47E730
	v_mul_f32_e32 v164, v48, v244                              // 00000002247C: 0B49E930
	v_mul_f32_e32 v165, v48, v245                              // 000000022480: 0B4BEB30
	v_mul_f32_e32 v166, v48, v246                              // 000000022484: 0B4DED30
	v_mul_f32_e32 v167, v48, v247                              // 000000022488: 0B4FEF30
	v_mul_f32_e32 v168, v48, v248                              // 00000002248C: 0B51F130
	v_mul_f32_e32 v169, v48, v249                              // 000000022490: 0B53F330
	v_mul_f32_e32 v170, v48, v250                              // 000000022494: 0B55F530
	v_mul_f32_e32 v171, v48, v251                              // 000000022498: 0B57F730
	v_mul_f32_e32 v172, v48, v252                              // 00000002249C: 0B59F930
	v_mul_f32_e32 v173, v48, v253                              // 0000000224A0: 0B5BFB30
	v_mul_f32_e32 v174, v48, v254                              // 0000000224A4: 0B5DFD30
	v_mul_f32_e32 v175, v48, v255                              // 0000000224A8: 0B5FFF30
	v_cvt_i32_f32_e32 v160, v160                               // 0000000224AC: 7F4011A0
	v_cvt_i32_f32_e32 v161, v161                               // 0000000224B0: 7F4211A1
	v_cvt_i32_f32_e32 v162, v162                               // 0000000224B4: 7F4411A2
	v_cvt_i32_f32_e32 v163, v163                               // 0000000224B8: 7F4611A3
	v_cvt_i32_f32_e32 v164, v164                               // 0000000224BC: 7F4811A4
	v_cvt_i32_f32_e32 v165, v165                               // 0000000224C0: 7F4A11A5
	v_cvt_i32_f32_e32 v166, v166                               // 0000000224C4: 7F4C11A6
	v_cvt_i32_f32_e32 v167, v167                               // 0000000224C8: 7F4E11A7
	v_cvt_i32_f32_e32 v168, v168                               // 0000000224CC: 7F5011A8
	v_cvt_i32_f32_e32 v169, v169                               // 0000000224D0: 7F5211A9
	v_cvt_i32_f32_e32 v170, v170                               // 0000000224D4: 7F5411AA
	v_cvt_i32_f32_e32 v171, v171                               // 0000000224D8: 7F5611AB
	v_cvt_i32_f32_e32 v172, v172                               // 0000000224DC: 7F5811AC
	v_cvt_i32_f32_e32 v173, v173                               // 0000000224E0: 7F5A11AD
	v_cvt_i32_f32_e32 v174, v174                               // 0000000224E4: 7F5C11AE
	v_cvt_i32_f32_e32 v175, v175                               // 0000000224E8: 7F5E11AF
	v_perm_b32 v160, v161, v160, s53                           // 0000000224EC: D1ED00A0 00D741A1
	v_perm_b32 v160, v162, v160, s54                           // 0000000224F4: D1ED00A0 00DB41A2
	v_perm_b32 v160, v163, v160, s55                           // 0000000224FC: D1ED00A0 00DF41A3
	v_perm_b32 v161, v165, v164, s53                           // 000000022504: D1ED00A1 00D749A5
	v_perm_b32 v161, v166, v161, s54                           // 00000002250C: D1ED00A1 00DB43A6
	v_perm_b32 v161, v167, v161, s55                           // 000000022514: D1ED00A1 00DF43A7
	v_perm_b32 v162, v169, v168, s53                           // 00000002251C: D1ED00A2 00D751A9
	v_perm_b32 v162, v170, v162, s54                           // 000000022524: D1ED00A2 00DB45AA
	v_perm_b32 v162, v171, v162, s55                           // 00000002252C: D1ED00A2 00DF45AB
	v_perm_b32 v163, v173, v172, s53                           // 000000022534: D1ED00A3 00D759AD
	v_perm_b32 v163, v174, v163, s54                           // 00000002253C: D1ED00A3 00DB47AE
	v_perm_b32 v163, v175, v163, s55                           // 000000022544: D1ED00A3 00DF47AF
	ds_write_b32 v10, v160 offset:37376                        // 00000002254C: D81A9200 0000A00A
	ds_write_b32 v10, v161 offset:38400                        // 000000022554: D81A9600 0000A10A
	ds_write_b32 v10, v162 offset:39424                        // 00000002255C: D81A9A00 0000A20A
	ds_write_b32 v10, v163 offset:40448                        // 000000022564: D81A9E00 0000A30A
	v_add_f32_e32 v232, v232, v200                             // 00000002256C: 03D191E8
	v_add_f32_e32 v233, v233, v201                             // 000000022570: 03D393E9
	v_add_f32_e32 v234, v234, v202                             // 000000022574: 03D595EA
	v_add_f32_e32 v235, v235, v203                             // 000000022578: 03D797EB
	v_add_f32_e32 v236, v236, v204                             // 00000002257C: 03D999EC
	v_add_f32_e32 v237, v237, v205                             // 000000022580: 03DB9BED
	v_add_f32_e32 v238, v238, v206                             // 000000022584: 03DD9DEE
	v_add_f32_e32 v239, v239, v207                             // 000000022588: 03DF9FEF
	v_rcp_f32_e32 v47, v48                                     // 00000002258C: 7E5E4530
	s_waitcnt lgkmcnt(0)                                       // 000000022590: BF8CC07F
	s_barrier                                                  // 000000022594: BF8A0000
	ds_read_b64 v[160:161], v9 offset:37376                    // 000000022598: D8EC9200 A0000009
	ds_read_b64 v[162:163], v9 offset:37504                    // 0000000225A0: D8EC9280 A2000009
	ds_read_b64 v[164:165], v9 offset:38400                    // 0000000225A8: D8EC9600 A4000009
	ds_read_b64 v[166:167], v9 offset:38528                    // 0000000225B0: D8EC9680 A6000009
	ds_read_b64 v[168:169], v9 offset:39424                    // 0000000225B8: D8EC9A00 A8000009
	ds_read_b64 v[170:171], v9 offset:39552                    // 0000000225C0: D8EC9A80 AA000009
	ds_read_b64 v[172:173], v9 offset:40448                    // 0000000225C8: D8EC9E00 AC000009
	ds_read_b64 v[174:175], v9 offset:40576                    // 0000000225D0: D8EC9E80 AE000009
	s_waitcnt vmcnt(15)                                        // 0000000225D8: BF8C0F7F
	v_mfma_i32_16x16x32_i8 v[176:179], a[64:65], v[112:113], 0 // 0000000225DC: D3D700B0 0A02E140
	v_mfma_i32_16x16x32_i8 v[176:179], a[66:67], v[114:115], v[176:179]// 0000000225E4: D3D700B0 0EC2E542
	buffer_load_dwordx4 a[112:115], v34, s[20:23], 0 offen offset:1024// 0000000225EC: E05C1400 80857022
	v_mfma_i32_16x16x32_i8 v[176:179], a[68:69], v[116:117], v[176:179]// 0000000225F4: D3D700B0 0EC2E944
	v_mfma_i32_16x16x32_i8 v[176:179], a[70:71], v[118:119], v[176:179]// 0000000225FC: D3D700B0 0EC2ED46
	v_mfma_i32_16x16x32_i8 v[176:179], a[72:73], v[120:121], v[176:179]// 000000022604: D3D700B0 0EC2F148
	v_mfma_i32_16x16x32_i8 v[176:179], a[74:75], v[122:123], v[176:179]// 00000002260C: D3D700B0 0EC2F54A
	buffer_load_dwordx4 a[116:119], v35, s[20:23], 0 offen offset:1024// 000000022614: E05C1400 80857423
	v_mfma_i32_16x16x32_i8 v[176:179], a[76:77], v[124:125], v[176:179]// 00000002261C: D3D700B0 0EC2F94C
	v_mfma_i32_16x16x32_i8 v[176:179], a[78:79], v[126:127], v[176:179]// 000000022624: D3D700B0 0EC2FD4E
	v_mfma_i32_16x16x32_i8 v[180:183], a[80:81], v[112:113], 0 // 00000002262C: D3D700B4 0A02E150
	v_mfma_i32_16x16x32_i8 v[180:183], a[82:83], v[114:115], v[180:183]// 000000022634: D3D700B4 0ED2E552
	buffer_load_dwordx4 a[120:123], v36, s[20:23], 0 offen offset:1024// 00000002263C: E05C1400 80857824
	v_mfma_i32_16x16x32_i8 v[180:183], a[84:85], v[116:117], v[180:183]// 000000022644: D3D700B4 0ED2E954
	v_mfma_i32_16x16x32_i8 v[180:183], a[86:87], v[118:119], v[180:183]// 00000002264C: D3D700B4 0ED2ED56
	v_mfma_i32_16x16x32_i8 v[180:183], a[88:89], v[120:121], v[180:183]// 000000022654: D3D700B4 0ED2F158
	v_mfma_i32_16x16x32_i8 v[180:183], a[90:91], v[122:123], v[180:183]// 00000002265C: D3D700B4 0ED2F55A
	buffer_load_dwordx4 a[124:127], v37, s[20:23], 0 offen offset:1024// 000000022664: E05C1400 80857C25
	v_mfma_i32_16x16x32_i8 v[180:183], a[92:93], v[124:125], v[180:183]// 00000002266C: D3D700B4 0ED2F95C
	s_lshr_b32 s57, s70, 4                                     // 000000022674: 8F398446
	s_add_u32 s57, 48, s57                                     // 000000022678: 803939B0
	v_mfma_i32_16x16x32_i8 v[180:183], a[94:95], v[126:127], v[180:183]// 00000002267C: D3D700B4 0ED2FD5E
	s_cmp_ge_u32 s57, s73                                      // 000000022684: BF094939
	s_cselect_b32 s56, 0, s56                                  // 000000022688: 85383880
	v_mfma_i32_16x16x32_i8 v[184:187], a[64:65], v[128:129], 0 // 00000002268C: D3D700B8 0A030140
	v_mfma_i32_16x16x32_i8 v[184:187], a[66:67], v[130:131], v[184:187]// 000000022694: D3D700B8 0EE30542
	v_mfma_i32_16x16x32_i8 v[184:187], a[68:69], v[132:133], v[184:187]// 00000002269C: D3D700B8 0EE30944
	v_mfma_i32_16x16x32_i8 v[184:187], a[70:71], v[134:135], v[184:187]// 0000000226A4: D3D700B8 0EE30D46
	v_mfma_i32_16x16x32_i8 v[184:187], a[72:73], v[136:137], v[184:187]// 0000000226AC: D3D700B8 0EE31148
	v_mfma_i32_16x16x32_i8 v[184:187], a[74:75], v[138:139], v[184:187]// 0000000226B4: D3D700B8 0EE3154A
	v_mfma_i32_16x16x32_i8 v[184:187], a[76:77], v[140:141], v[184:187]// 0000000226BC: D3D700B8 0EE3194C
	v_mfma_i32_16x16x32_i8 v[184:187], a[78:79], v[142:143], v[184:187]// 0000000226C4: D3D700B8 0EE31D4E
	v_mfma_i32_16x16x32_i8 v[188:191], a[80:81], v[128:129], 0 // 0000000226CC: D3D700BC 0A030150
	v_mfma_i32_16x16x32_i8 v[188:191], a[82:83], v[130:131], v[188:191]// 0000000226D4: D3D700BC 0EF30552
	v_mfma_i32_16x16x32_i8 v[188:191], a[84:85], v[132:133], v[188:191]// 0000000226DC: D3D700BC 0EF30954
	v_mfma_i32_16x16x32_i8 v[188:191], a[86:87], v[134:135], v[188:191]// 0000000226E4: D3D700BC 0EF30D56
	v_mfma_i32_16x16x32_i8 v[188:191], a[88:89], v[136:137], v[188:191]// 0000000226EC: D3D700BC 0EF31158
	v_mfma_i32_16x16x32_i8 v[188:191], a[90:91], v[138:139], v[188:191]// 0000000226F4: D3D700BC 0EF3155A
	v_mfma_i32_16x16x32_i8 v[188:191], a[92:93], v[140:141], v[188:191]// 0000000226FC: D3D700BC 0EF3195C
	v_mfma_i32_16x16x32_i8 v[188:191], a[94:95], v[142:143], v[188:191]// 000000022704: D3D700BC 0EF31D5E
	v_mfma_i32_16x16x32_i8 v[192:195], a[64:65], v[144:145], 0 // 00000002270C: D3D700C0 0A032140
	v_mfma_i32_16x16x32_i8 v[192:195], a[66:67], v[146:147], v[192:195]// 000000022714: D3D700C0 0F032542
	v_mfma_i32_16x16x32_i8 v[192:195], a[68:69], v[148:149], v[192:195]// 00000002271C: D3D700C0 0F032944
	v_mfma_i32_16x16x32_i8 v[192:195], a[70:71], v[150:151], v[192:195]// 000000022724: D3D700C0 0F032D46
	v_mfma_i32_16x16x32_i8 v[192:195], a[72:73], v[152:153], v[192:195]// 00000002272C: D3D700C0 0F033148
	v_mfma_i32_16x16x32_i8 v[192:195], a[74:75], v[154:155], v[192:195]// 000000022734: D3D700C0 0F03354A
	v_mfma_i32_16x16x32_i8 v[192:195], a[76:77], v[156:157], v[192:195]// 00000002273C: D3D700C0 0F03394C
	v_mfma_i32_16x16x32_i8 v[192:195], a[78:79], v[158:159], v[192:195]// 000000022744: D3D700C0 0F033D4E
	v_mfma_i32_16x16x32_i8 v[196:199], a[80:81], v[144:145], 0 // 00000002274C: D3D700C4 0A032150
	v_mfma_i32_16x16x32_i8 v[196:199], a[82:83], v[146:147], v[196:199]// 000000022754: D3D700C4 0F132552
	v_mfma_i32_16x16x32_i8 v[196:199], a[84:85], v[148:149], v[196:199]// 00000002275C: D3D700C4 0F132954
	v_mfma_i32_16x16x32_i8 v[196:199], a[86:87], v[150:151], v[196:199]// 000000022764: D3D700C4 0F132D56
	v_mfma_i32_16x16x32_i8 v[196:199], a[88:89], v[152:153], v[196:199]// 00000002276C: D3D700C4 0F133158
	v_mfma_i32_16x16x32_i8 v[196:199], a[90:91], v[154:155], v[196:199]// 000000022774: D3D700C4 0F13355A
	v_mfma_i32_16x16x32_i8 v[196:199], a[92:93], v[156:157], v[196:199]// 00000002277C: D3D700C4 0F13395C
	v_mfma_i32_16x16x32_i8 v[196:199], a[94:95], v[158:159], v[196:199]// 000000022784: D3D700C4 0F133D5E
	v_mfma_i32_16x16x32_i8 v[200:203], a[64:65], v[160:161], 0 // 00000002278C: D3D700C8 0A034140
	v_mfma_i32_16x16x32_i8 v[200:203], a[66:67], v[162:163], v[200:203]// 000000022794: D3D700C8 0F234542
	v_mfma_i32_16x16x32_i8 v[200:203], a[68:69], v[164:165], v[200:203]// 00000002279C: D3D700C8 0F234944
	v_mfma_i32_16x16x32_i8 v[200:203], a[70:71], v[166:167], v[200:203]// 0000000227A4: D3D700C8 0F234D46
	v_mfma_i32_16x16x32_i8 v[200:203], a[72:73], v[168:169], v[200:203]// 0000000227AC: D3D700C8 0F235148
	v_mfma_i32_16x16x32_i8 v[200:203], a[74:75], v[170:171], v[200:203]// 0000000227B4: D3D700C8 0F23554A
	v_mfma_i32_16x16x32_i8 v[200:203], a[76:77], v[172:173], v[200:203]// 0000000227BC: D3D700C8 0F23594C
	v_mfma_i32_16x16x32_i8 v[200:203], a[78:79], v[174:175], v[200:203]// 0000000227C4: D3D700C8 0F235D4E
	v_mfma_i32_16x16x32_i8 v[204:207], a[80:81], v[160:161], 0 // 0000000227CC: D3D700CC 0A034150
	v_mfma_i32_16x16x32_i8 v[204:207], a[82:83], v[162:163], v[204:207]// 0000000227D4: D3D700CC 0F334552
	v_mfma_i32_16x16x32_i8 v[204:207], a[84:85], v[164:165], v[204:207]// 0000000227DC: D3D700CC 0F334954
	v_mfma_i32_16x16x32_i8 v[204:207], a[86:87], v[166:167], v[204:207]// 0000000227E4: D3D700CC 0F334D56
	v_mfma_i32_16x16x32_i8 v[204:207], a[88:89], v[168:169], v[204:207]// 0000000227EC: D3D700CC 0F335158
	v_mfma_i32_16x16x32_i8 v[204:207], a[90:91], v[170:171], v[204:207]// 0000000227F4: D3D700CC 0F33555A
	v_mfma_i32_16x16x32_i8 v[204:207], a[92:93], v[172:173], v[204:207]// 0000000227FC: D3D700CC 0F33595C
	v_mfma_i32_16x16x32_i8 v[204:207], a[94:95], v[174:175], v[204:207]// 000000022804: D3D700CC 0F335D5E
	v_add_u32_e32 v1, s56, v1                                  // 00000002280C: 68020238
	s_addk_i32 s70, 0x100                                      // 000000022810: B7460100
	s_cmp_lt_i32 s70, s71                                      // 000000022814: BF044746
	s_cbranch_scc0 label_8C43                                  // 000000022818: BF840ABC
	s_waitcnt vmcnt(8) lgkmcnt(0)                              // 00000002281C: BF8C0078
	v_mul_u32_u24_dpp v64, v16, v54 row_newbcast:0 row_mask:0xf bank_mask:0xf// 000000022820: 10806CFA FF015010
	v_mul_u32_u24_dpp v65, v16, v54 row_newbcast:4 row_mask:0xf bank_mask:0xf// 000000022828: 10826CFA FF015410
	v_mul_u32_u24_dpp v66, v16, v54 row_newbcast:8 row_mask:0xf bank_mask:0xf// 000000022830: 10846CFA FF015810
	v_mul_u32_u24_dpp v67, v16, v54 row_newbcast:12 row_mask:0xf bank_mask:0xf// 000000022838: 10866CFA FF015C10
	v_add_u32_e32 v22, v64, v5                                 // 000000022840: 682C0B40
	v_add_u32_e32 v23, v65, v5                                 // 000000022844: 682E0B41
	v_add_u32_e32 v24, v66, v5                                 // 000000022848: 68300B42
	v_add_u32_e32 v25, v67, v5                                 // 00000002284C: 68320B43
	v_mul_u32_u24_dpp v64, v16, v63 quad_perm:[0,0,0,0] row_mask:0xf bank_mask:0xf// 000000022850: 10807EFA FF000010
	v_add_u32_e32 v2, v64, v59                                 // 000000022858: 68047740
	v_mul_u32_u24_dpp v64, v16, v63 quad_perm:[0,0,0,0] row_mask:0xf bank_mask:0xf// 00000002285C: 10807EFA FF000010
	v_add_u32_e32 v55, v64, v60                                // 000000022864: 686E7940
	v_mfma_i32_16x16x32_i8 v[112:115], a[32:33], v[80:81], 0   // 000000022868: D3D70070 0A02A120
	v_mfma_i32_16x16x32_i8 v[112:115], a[34:35], v[82:83], v[112:115]// 000000022870: D3D70070 0DC2A522
	buffer_load_dwordx4 a[0:3], v22, s[16:19], 0 offen         // 000000022878: E05C1000 80840016
	v_mfma_i32_16x16x32_i8 v[112:115], a[36:37], v[84:85], v[112:115]// 000000022880: D3D70070 0DC2A924
	v_mfma_i32_16x16x32_i8 v[112:115], a[38:39], v[86:87], v[112:115]// 000000022888: D3D70070 0DC2AD26
	buffer_load_dword v17, v1, s[24:27], 0 offen               // 000000022890: E0501000 80061101
	v_mfma_i32_16x16x32_i8 v[116:119], a[40:41], v[80:81], 0   // 000000022898: D3D70074 0A02A128
	v_mfma_i32_16x16x32_i8 v[116:119], a[42:43], v[82:83], v[116:119]// 0000000228A0: D3D70074 0DD2A52A
	buffer_load_dwordx4 a[4:7], v22, s[16:19], 0 offen offset:1024// 0000000228A8: E05C1400 80840416
	v_mfma_i32_16x16x32_i8 v[116:119], a[44:45], v[84:85], v[116:119]// 0000000228B0: D3D70074 0DD2A92C
	v_mfma_i32_16x16x32_i8 v[116:119], a[46:47], v[86:87], v[116:119]// 0000000228B8: D3D70074 0DD2AD2E
	v_mfma_i32_16x16x32_i8 v[120:123], a[48:49], v[80:81], 0   // 0000000228C0: D3D70078 0A02A130
	v_mfma_i32_16x16x32_i8 v[120:123], a[50:51], v[82:83], v[120:123]// 0000000228C8: D3D70078 0DE2A532
	buffer_load_dwordx4 a[8:11], v23, s[16:19], 0 offen        // 0000000228D0: E05C1000 80840817
	v_mfma_i32_16x16x32_i8 v[120:123], a[52:53], v[84:85], v[120:123]// 0000000228D8: D3D70078 0DE2A934
	v_mfma_i32_16x16x32_i8 v[120:123], a[54:55], v[86:87], v[120:123]// 0000000228E0: D3D70078 0DE2AD36
	v_mfma_i32_16x16x32_i8 v[124:127], a[56:57], v[80:81], 0   // 0000000228E8: D3D7007C 0A02A138
	v_mfma_i32_16x16x32_i8 v[124:127], a[58:59], v[82:83], v[124:127]// 0000000228F0: D3D7007C 0DF2A53A
	buffer_load_dwordx4 a[12:15], v23, s[16:19], 0 offen offset:1024// 0000000228F8: E05C1400 80840C17
	v_mfma_i32_16x16x32_i8 v[124:127], a[60:61], v[84:85], v[124:127]// 000000022900: D3D7007C 0DF2A93C
	v_mfma_i32_16x16x32_i8 v[124:127], a[62:63], v[86:87], v[124:127]// 000000022908: D3D7007C 0DF2AD3E
	v_mfma_i32_16x16x32_i8 v[128:131], a[32:33], v[88:89], 0   // 000000022910: D3D70080 0A02B120
	v_mfma_i32_16x16x32_i8 v[128:131], a[34:35], v[90:91], v[128:131]// 000000022918: D3D70080 0E02B522
	v_mfma_i32_16x16x32_i8 v[128:131], a[36:37], v[92:93], v[128:131]// 000000022920: D3D70080 0E02B924
	v_mfma_i32_16x16x32_i8 v[128:131], a[38:39], v[94:95], v[128:131]// 000000022928: D3D70080 0E02BD26
	v_mfma_i32_16x16x32_i8 v[132:135], a[40:41], v[88:89], 0   // 000000022930: D3D70084 0A02B128
	v_mfma_i32_16x16x32_i8 v[132:135], a[42:43], v[90:91], v[132:135]// 000000022938: D3D70084 0E12B52A
	v_mfma_i32_16x16x32_i8 v[132:135], a[44:45], v[92:93], v[132:135]// 000000022940: D3D70084 0E12B92C
	v_mfma_i32_16x16x32_i8 v[132:135], a[46:47], v[94:95], v[132:135]// 000000022948: D3D70084 0E12BD2E
	v_mfma_i32_16x16x32_i8 v[136:139], a[48:49], v[88:89], 0   // 000000022950: D3D70088 0A02B130
	v_mfma_i32_16x16x32_i8 v[136:139], a[50:51], v[90:91], v[136:139]// 000000022958: D3D70088 0E22B532
	v_mfma_i32_16x16x32_i8 v[136:139], a[52:53], v[92:93], v[136:139]// 000000022960: D3D70088 0E22B934
	v_mfma_i32_16x16x32_i8 v[136:139], a[54:55], v[94:95], v[136:139]// 000000022968: D3D70088 0E22BD36
	v_mfma_i32_16x16x32_i8 v[140:143], a[56:57], v[88:89], 0   // 000000022970: D3D7008C 0A02B138
	v_mfma_i32_16x16x32_i8 v[140:143], a[58:59], v[90:91], v[140:143]// 000000022978: D3D7008C 0E32B53A
	v_mfma_i32_16x16x32_i8 v[140:143], a[60:61], v[92:93], v[140:143]// 000000022980: D3D7008C 0E32B93C
	v_mfma_i32_16x16x32_i8 v[140:143], a[62:63], v[94:95], v[140:143]// 000000022988: D3D7008C 0E32BD3E
	v_mfma_i32_16x16x32_i8 v[144:147], a[32:33], v[96:97], 0   // 000000022990: D3D70090 0A02C120
	v_mfma_i32_16x16x32_i8 v[144:147], a[34:35], v[98:99], v[144:147]// 000000022998: D3D70090 0E42C522
	v_mfma_i32_16x16x32_i8 v[144:147], a[36:37], v[100:101], v[144:147]// 0000000229A0: D3D70090 0E42C924
	v_mfma_i32_16x16x32_i8 v[144:147], a[38:39], v[102:103], v[144:147]// 0000000229A8: D3D70090 0E42CD26
	v_mfma_i32_16x16x32_i8 v[148:151], a[40:41], v[96:97], 0   // 0000000229B0: D3D70094 0A02C128
	v_mfma_i32_16x16x32_i8 v[148:151], a[42:43], v[98:99], v[148:151]// 0000000229B8: D3D70094 0E52C52A
	v_mfma_i32_16x16x32_i8 v[148:151], a[44:45], v[100:101], v[148:151]// 0000000229C0: D3D70094 0E52C92C
	v_mfma_i32_16x16x32_i8 v[148:151], a[46:47], v[102:103], v[148:151]// 0000000229C8: D3D70094 0E52CD2E
	v_mfma_i32_16x16x32_i8 v[152:155], a[48:49], v[96:97], 0   // 0000000229D0: D3D70098 0A02C130
	v_mfma_i32_16x16x32_i8 v[152:155], a[50:51], v[98:99], v[152:155]// 0000000229D8: D3D70098 0E62C532
	v_mfma_i32_16x16x32_i8 v[152:155], a[52:53], v[100:101], v[152:155]// 0000000229E0: D3D70098 0E62C934
	v_mfma_i32_16x16x32_i8 v[152:155], a[54:55], v[102:103], v[152:155]// 0000000229E8: D3D70098 0E62CD36
	v_mfma_i32_16x16x32_i8 v[156:159], a[56:57], v[96:97], 0   // 0000000229F0: D3D7009C 0A02C138
	v_mfma_i32_16x16x32_i8 v[156:159], a[58:59], v[98:99], v[156:159]// 0000000229F8: D3D7009C 0E72C53A
	v_mfma_i32_16x16x32_i8 v[156:159], a[60:61], v[100:101], v[156:159]// 000000022A00: D3D7009C 0E72C93C
	v_mfma_i32_16x16x32_i8 v[156:159], a[62:63], v[102:103], v[156:159]// 000000022A08: D3D7009C 0E72CD3E
	v_mfma_i32_16x16x32_i8 v[160:163], a[32:33], v[104:105], 0 // 000000022A10: D3D700A0 0A02D120
	v_mfma_i32_16x16x32_i8 v[160:163], a[34:35], v[106:107], v[160:163]// 000000022A18: D3D700A0 0E82D522
	v_mfma_i32_16x16x32_i8 v[160:163], a[36:37], v[108:109], v[160:163]// 000000022A20: D3D700A0 0E82D924
	v_mfma_i32_16x16x32_i8 v[160:163], a[38:39], v[110:111], v[160:163]// 000000022A28: D3D700A0 0E82DD26
	v_mfma_i32_16x16x32_i8 v[164:167], a[40:41], v[104:105], 0 // 000000022A30: D3D700A4 0A02D128
	v_mfma_i32_16x16x32_i8 v[164:167], a[42:43], v[106:107], v[164:167]// 000000022A38: D3D700A4 0E92D52A
	v_mfma_i32_16x16x32_i8 v[164:167], a[44:45], v[108:109], v[164:167]// 000000022A40: D3D700A4 0E92D92C
	v_mfma_i32_16x16x32_i8 v[164:167], a[46:47], v[110:111], v[164:167]// 000000022A48: D3D700A4 0E92DD2E
	v_mfma_i32_16x16x32_i8 v[168:171], a[48:49], v[104:105], 0 // 000000022A50: D3D700A8 0A02D130
	v_mfma_i32_16x16x32_i8 v[168:171], a[50:51], v[106:107], v[168:171]// 000000022A58: D3D700A8 0EA2D532
	v_mfma_i32_16x16x32_i8 v[168:171], a[52:53], v[108:109], v[168:171]// 000000022A60: D3D700A8 0EA2D934
	v_mfma_i32_16x16x32_i8 v[168:171], a[54:55], v[110:111], v[168:171]// 000000022A68: D3D700A8 0EA2DD36
	v_mfma_i32_16x16x32_i8 v[172:175], a[56:57], v[104:105], 0 // 000000022A70: D3D700AC 0A02D138
	v_mfma_i32_16x16x32_i8 v[172:175], a[58:59], v[106:107], v[172:175]// 000000022A78: D3D700AC 0EB2D53A
	v_mfma_i32_16x16x32_i8 v[172:175], a[60:61], v[108:109], v[172:175]// 000000022A80: D3D700AC 0EB2D93C
	v_mfma_i32_16x16x32_i8 v[172:175], a[62:63], v[110:111], v[172:175]// 000000022A88: D3D700AC 0EB2DD3E
	buffer_load_dword v42, v2, s[32:35], 0 offen               // 000000022A90: E0501000 80082A02
	v_mov_b32_dpp v64, v43 row_shr:4 row_mask:0xf bank_mask:0xf// 000000022A98: 7E8002FA FF01142B
	v_mov_b32_dpp v65, v43 row_shl:4 row_mask:0xf bank_mask:0xf// 000000022AA0: 7E8202FA FF01042B
	v_cndmask_b32_e64 v248, v43, v64, s[44:45]                 // 000000022AA8: D10000F8 00B2812B
	v_cndmask_b32_e64 v249, v65, v43, s[44:45]                 // 000000022AB0: D10000F9 00B25741
	v_mov_b32_dpp v64, v248 row_shr:8 row_mask:0xf bank_mask:0xf// 000000022AB8: 7E8002FA FF0118F8
	v_mov_b32_dpp v65, v248 row_shl:8 row_mask:0xf bank_mask:0xf// 000000022AC0: 7E8202FA FF0108F8
	v_mov_b32_dpp v66, v249 row_shr:8 row_mask:0xf bank_mask:0xf// 000000022AC8: 7E8402FA FF0118F9
	v_mov_b32_dpp v67, v249 row_shl:8 row_mask:0xf bank_mask:0xf// 000000022AD0: 7E8602FA FF0108F9
	v_mov_b32_e32 v68, v248                                    // 000000022AD8: 7E8803F8
	v_mov_b32_e32 v69, v249                                    // 000000022ADC: 7E8A03F9
	v_cndmask_b32_e64 v248, v68, v64, s[42:43]                 // 000000022AE0: D10000F8 00AA8144
	v_cndmask_b32_e64 v250, v68, v65, s[78:79]                 // 000000022AE8: D10000FA 013A8344
	v_cndmask_b32_e64 v249, v69, v66, s[42:43]                 // 000000022AF0: D10000F9 00AA8545
	v_cndmask_b32_e64 v251, v69, v67, s[78:79]                 // 000000022AF8: D10000FB 013A8745
	v_mov_b32_dpp v64, v58 row_shr:4 row_mask:0xf bank_mask:0xf// 000000022B00: 7E8002FA FF01143A
	v_mov_b32_dpp v65, v58 row_shl:4 row_mask:0xf bank_mask:0xf// 000000022B08: 7E8202FA FF01043A
	v_cndmask_b32_e64 v252, v58, v64, s[44:45]                 // 000000022B10: D10000FC 00B2813A
	v_cndmask_b32_e64 v253, v65, v58, s[44:45]                 // 000000022B18: D10000FD 00B27541
	v_mov_b32_dpp v64, v252 row_shr:8 row_mask:0xf bank_mask:0xf// 000000022B20: 7E8002FA FF0118FC
	v_mov_b32_dpp v65, v252 row_shl:8 row_mask:0xf bank_mask:0xf// 000000022B28: 7E8202FA FF0108FC
	v_mov_b32_dpp v66, v253 row_shr:8 row_mask:0xf bank_mask:0xf// 000000022B30: 7E8402FA FF0118FD
	v_mov_b32_dpp v67, v253 row_shl:8 row_mask:0xf bank_mask:0xf// 000000022B38: 7E8602FA FF0108FD
	v_mov_b32_e32 v68, v252                                    // 000000022B40: 7E8803FC
	v_mov_b32_e32 v69, v253                                    // 000000022B44: 7E8A03FD
	v_cndmask_b32_e64 v252, v68, v64, s[42:43]                 // 000000022B48: D10000FC 00AA8144
	v_cndmask_b32_e64 v254, v68, v65, s[78:79]                 // 000000022B50: D10000FE 013A8344
	v_cndmask_b32_e64 v253, v69, v66, s[42:43]                 // 000000022B58: D10000FD 00AA8545
	v_cndmask_b32_e64 v255, v69, v67, s[78:79]                 // 000000022B60: D10000FF 013A8745
	buffer_load_dword v57, v55, s[36:39], 0 offen              // 000000022B68: E0501000 80093937
	v_cvt_f32_i32_e32 v112, v112                               // 000000022B70: 7EE00B70
	v_cvt_f32_i32_e32 v113, v113                               // 000000022B74: 7EE20B71
	v_cvt_f32_i32_e32 v114, v114                               // 000000022B78: 7EE40B72
	v_cvt_f32_i32_e32 v115, v115                               // 000000022B7C: 7EE60B73
	v_cvt_f32_i32_e32 v116, v116                               // 000000022B80: 7EE80B74
	v_cvt_f32_i32_e32 v117, v117                               // 000000022B84: 7EEA0B75
	v_cvt_f32_i32_e32 v118, v118                               // 000000022B88: 7EEC0B76
	v_cvt_f32_i32_e32 v119, v119                               // 000000022B8C: 7EEE0B77
	v_cvt_f32_i32_e32 v120, v120                               // 000000022B90: 7EF00B78
	v_cvt_f32_i32_e32 v121, v121                               // 000000022B94: 7EF20B79
	v_cvt_f32_i32_e32 v122, v122                               // 000000022B98: 7EF40B7A
	v_cvt_f32_i32_e32 v123, v123                               // 000000022B9C: 7EF60B7B
	v_cvt_f32_i32_e32 v124, v124                               // 000000022BA0: 7EF80B7C
	v_cvt_f32_i32_e32 v125, v125                               // 000000022BA4: 7EFA0B7D
	v_cvt_f32_i32_e32 v126, v126                               // 000000022BA8: 7EFC0B7E
	v_cvt_f32_i32_e32 v127, v127                               // 000000022BAC: 7EFE0B7F
	v_mul_f32_e32 v112, v18, v112                              // 000000022BB0: 0AE0E112
	v_mul_f32_e32 v113, v18, v113                              // 000000022BB4: 0AE2E312
	v_mul_f32_e32 v114, v18, v114                              // 000000022BB8: 0AE4E512
	v_mul_f32_e32 v115, v18, v115                              // 000000022BBC: 0AE6E712
	v_mul_f32_e32 v116, v18, v116                              // 000000022BC0: 0AE8E912
	v_mul_f32_e32 v117, v18, v117                              // 000000022BC4: 0AEAEB12
	v_mul_f32_e32 v118, v18, v118                              // 000000022BC8: 0AECED12
	v_mul_f32_e32 v119, v18, v119                              // 000000022BCC: 0AEEEF12
	v_mul_f32_e32 v120, v18, v120                              // 000000022BD0: 0AF0F112
	v_mul_f32_e32 v121, v18, v121                              // 000000022BD4: 0AF2F312
	v_mul_f32_e32 v122, v18, v122                              // 000000022BD8: 0AF4F512
	v_mul_f32_e32 v123, v18, v123                              // 000000022BDC: 0AF6F712
	v_mul_f32_e32 v124, v18, v124                              // 000000022BE0: 0AF8F912
	v_mul_f32_e32 v125, v18, v125                              // 000000022BE4: 0AFAFB12
	v_mul_f32_e32 v126, v18, v126                              // 000000022BE8: 0AFCFD12
	v_mul_f32_e32 v127, v18, v127                              // 000000022BEC: 0AFEFF12
	buffer_load_dwordx4 a[16:19], v24, s[16:19], 0 offen       // 000000022BF0: E05C1000 80841018
	v_mul_f32_dpp v112, v248, v112 quad_perm:[0,0,0,0] row_mask:0xf bank_mask:0xf// 000000022BF8: 0AE0E0FA FF0000F8
	v_mul_f32_dpp v113, v248, v113 quad_perm:[1,1,1,1] row_mask:0xf bank_mask:0xf// 000000022C00: 0AE2E2FA FF0055F8
	v_mul_f32_dpp v114, v248, v114 quad_perm:[2,2,2,2] row_mask:0xf bank_mask:0xf// 000000022C08: 0AE4E4FA FF00AAF8
	v_mul_f32_dpp v115, v248, v115 quad_perm:[3,3,3,3] row_mask:0xf bank_mask:0xf// 000000022C10: 0AE6E6FA FF00FFF8
	v_mul_f32_dpp v116, v249, v116 quad_perm:[0,0,0,0] row_mask:0xf bank_mask:0xf// 000000022C18: 0AE8E8FA FF0000F9
	v_mul_f32_dpp v117, v249, v117 quad_perm:[1,1,1,1] row_mask:0xf bank_mask:0xf// 000000022C20: 0AEAEAFA FF0055F9
	v_mul_f32_dpp v118, v249, v118 quad_perm:[2,2,2,2] row_mask:0xf bank_mask:0xf// 000000022C28: 0AECECFA FF00AAF9
	v_mul_f32_dpp v119, v249, v119 quad_perm:[3,3,3,3] row_mask:0xf bank_mask:0xf// 000000022C30: 0AEEEEFA FF00FFF9
	v_mul_f32_dpp v120, v250, v120 quad_perm:[0,0,0,0] row_mask:0xf bank_mask:0xf// 000000022C38: 0AF0F0FA FF0000FA
	v_mul_f32_dpp v121, v250, v121 quad_perm:[1,1,1,1] row_mask:0xf bank_mask:0xf// 000000022C40: 0AF2F2FA FF0055FA
	v_mul_f32_dpp v122, v250, v122 quad_perm:[2,2,2,2] row_mask:0xf bank_mask:0xf// 000000022C48: 0AF4F4FA FF00AAFA
	v_mul_f32_dpp v123, v250, v123 quad_perm:[3,3,3,3] row_mask:0xf bank_mask:0xf// 000000022C50: 0AF6F6FA FF00FFFA
	v_mul_f32_dpp v124, v251, v124 quad_perm:[0,0,0,0] row_mask:0xf bank_mask:0xf// 000000022C58: 0AF8F8FA FF0000FB
	v_mul_f32_dpp v125, v251, v125 quad_perm:[1,1,1,1] row_mask:0xf bank_mask:0xf// 000000022C60: 0AFAFAFA FF0055FB
	v_mul_f32_dpp v126, v251, v126 quad_perm:[2,2,2,2] row_mask:0xf bank_mask:0xf// 000000022C68: 0AFCFCFA FF00AAFB
	v_mul_f32_dpp v127, v251, v127 quad_perm:[3,3,3,3] row_mask:0xf bank_mask:0xf// 000000022C70: 0AFEFEFA FF00FFFB
	buffer_load_dwordx4 a[20:23], v24, s[16:19], 0 offen offset:1024// 000000022C78: E05C1400 80841418
	s_cmp_le_i32 s90, s89                                      // 000000022C80: BF05595A
	s_cbranch_scc1 label_8313                                  // 000000022C84: BF850071
	v_mov_b32_e32 v66, 0xff800000                              // 000000022C88: 7E8402FF FF800000
	s_mov_b32 s60, s90                                         // 000000022C90: BEBC005A
	s_add_u32 s61, s89, 0xff                                   // 000000022C94: 803DFF59 000000FF
	v_mov_b32_e32 v64, s61                                     // 000000022C9C: 7E80023D
	v_lshrrev_b32_e32 v240, 4, v0                              // 000000022CA0: 21E00084
	v_mul_i32_i24_e32 v240, 4, v240                            // 000000022CA4: 0DE1E084
	v_add_u32_e32 v240, s60, v240                              // 000000022CA8: 69E1E03C
	s_mov_b32 s61, 0                                           // 000000022CAC: BEBD0080
	s_mul_i32 s60, 16, s7                                      // 000000022CB0: 923C0790
	v_sub_u32_e64 v240, v240, s61                              // 000000022CB4: D13500F0 00007BF0
	v_add_u32_e32 v240, s60, v240                              // 000000022CBC: 69E1E03C
	v_add_u32_e32 v241, 1, v240                                // 000000022CC0: 69E3E081
	v_add_u32_e32 v242, 2, v240                                // 000000022CC4: 69E5E082
	v_add_u32_e32 v243, 3, v240                                // 000000022CC8: 69E7E083
	v_cmp_le_u32_e64 s[40:41], v240, v64                       // 000000022CCC: D0CB0028 000281F0
	v_add_u32_e32 v240, 64, v240                               // 000000022CD4: 69E1E0C0
	s_nop 0                                                    // 000000022CD8: BF800000
	v_cndmask_b32_e64 v112, v66, v112, s[40:41]                // 000000022CDC: D1000070 00A2E142
	v_cmp_le_u32_e64 s[40:41], v241, v64                       // 000000022CE4: D0CB0028 000281F1
	v_add_u32_e32 v241, 64, v241                               // 000000022CEC: 69E3E2C0
	s_nop 0                                                    // 000000022CF0: BF800000
	v_cndmask_b32_e64 v113, v66, v113, s[40:41]                // 000000022CF4: D1000071 00A2E342
	v_cmp_le_u32_e64 s[40:41], v242, v64                       // 000000022CFC: D0CB0028 000281F2
	v_add_u32_e32 v242, 64, v242                               // 000000022D04: 69E5E4C0
	s_nop 0                                                    // 000000022D08: BF800000
	v_cndmask_b32_e64 v114, v66, v114, s[40:41]                // 000000022D0C: D1000072 00A2E542
	v_cmp_le_u32_e64 s[40:41], v243, v64                       // 000000022D14: D0CB0028 000281F3
	v_add_u32_e32 v243, 64, v243                               // 000000022D1C: 69E7E6C0
	s_nop 0                                                    // 000000022D20: BF800000
	v_cndmask_b32_e64 v115, v66, v115, s[40:41]                // 000000022D24: D1000073 00A2E742
	v_cmp_le_u32_e64 s[40:41], v240, v64                       // 000000022D2C: D0CB0028 000281F0
	v_add_u32_e32 v240, 64, v240                               // 000000022D34: 69E1E0C0
	s_nop 0                                                    // 000000022D38: BF800000
	v_cndmask_b32_e64 v116, v66, v116, s[40:41]                // 000000022D3C: D1000074 00A2E942
	v_cmp_le_u32_e64 s[40:41], v241, v64                       // 000000022D44: D0CB0028 000281F1
	v_add_u32_e32 v241, 64, v241                               // 000000022D4C: 69E3E2C0
	s_nop 0                                                    // 000000022D50: BF800000
	v_cndmask_b32_e64 v117, v66, v117, s[40:41]                // 000000022D54: D1000075 00A2EB42
	v_cmp_le_u32_e64 s[40:41], v242, v64                       // 000000022D5C: D0CB0028 000281F2
	v_add_u32_e32 v242, 64, v242                               // 000000022D64: 69E5E4C0
	s_nop 0                                                    // 000000022D68: BF800000
	v_cndmask_b32_e64 v118, v66, v118, s[40:41]                // 000000022D6C: D1000076 00A2ED42
	v_cmp_le_u32_e64 s[40:41], v243, v64                       // 000000022D74: D0CB0028 000281F3
	v_add_u32_e32 v243, 64, v243                               // 000000022D7C: 69E7E6C0
	s_nop 0                                                    // 000000022D80: BF800000
	v_cndmask_b32_e64 v119, v66, v119, s[40:41]                // 000000022D84: D1000077 00A2EF42
	v_cmp_le_u32_e64 s[40:41], v240, v64                       // 000000022D8C: D0CB0028 000281F0
	v_add_u32_e32 v240, 64, v240                               // 000000022D94: 69E1E0C0
	s_nop 0                                                    // 000000022D98: BF800000
	v_cndmask_b32_e64 v120, v66, v120, s[40:41]                // 000000022D9C: D1000078 00A2F142
	v_cmp_le_u32_e64 s[40:41], v241, v64                       // 000000022DA4: D0CB0028 000281F1
	v_add_u32_e32 v241, 64, v241                               // 000000022DAC: 69E3E2C0
	s_nop 0                                                    // 000000022DB0: BF800000
	v_cndmask_b32_e64 v121, v66, v121, s[40:41]                // 000000022DB4: D1000079 00A2F342
	v_cmp_le_u32_e64 s[40:41], v242, v64                       // 000000022DBC: D0CB0028 000281F2
	v_add_u32_e32 v242, 64, v242                               // 000000022DC4: 69E5E4C0
	s_nop 0                                                    // 000000022DC8: BF800000
	v_cndmask_b32_e64 v122, v66, v122, s[40:41]                // 000000022DCC: D100007A 00A2F542
	v_cmp_le_u32_e64 s[40:41], v243, v64                       // 000000022DD4: D0CB0028 000281F3
	v_add_u32_e32 v243, 64, v243                               // 000000022DDC: 69E7E6C0
	s_nop 0                                                    // 000000022DE0: BF800000
	v_cndmask_b32_e64 v123, v66, v123, s[40:41]                // 000000022DE4: D100007B 00A2F742
	v_cmp_le_u32_e64 s[40:41], v240, v64                       // 000000022DEC: D0CB0028 000281F0
	v_add_u32_e32 v240, 64, v240                               // 000000022DF4: 69E1E0C0
	s_nop 0                                                    // 000000022DF8: BF800000
	v_cndmask_b32_e64 v124, v66, v124, s[40:41]                // 000000022DFC: D100007C 00A2F942
	v_cmp_le_u32_e64 s[40:41], v241, v64                       // 000000022E04: D0CB0028 000281F1
	v_add_u32_e32 v241, 64, v241                               // 000000022E0C: 69E3E2C0
	s_nop 0                                                    // 000000022E10: BF800000
	v_cndmask_b32_e64 v125, v66, v125, s[40:41]                // 000000022E14: D100007D 00A2FB42
	v_cmp_le_u32_e64 s[40:41], v242, v64                       // 000000022E1C: D0CB0028 000281F2
	v_add_u32_e32 v242, 64, v242                               // 000000022E24: 69E5E4C0
	s_nop 0                                                    // 000000022E28: BF800000
	v_cndmask_b32_e64 v126, v66, v126, s[40:41]                // 000000022E2C: D100007E 00A2FD42
	v_cmp_le_u32_e64 s[40:41], v243, v64                       // 000000022E34: D0CB0028 000281F3
	v_add_u32_e32 v243, 64, v243                               // 000000022E3C: 69E7E6C0
	s_nop 0                                                    // 000000022E40: BF800000
	v_cndmask_b32_e64 v127, v66, v127, s[40:41]                // 000000022E44: D100007F 00A2FF42

0000000000022e4c <label_8313>:
	v_mov_b32_e32 v48, v112                                    // 000000022E4C: 7E600370
	v_max3_f32 v48, v112, v113, v48                            // 000000022E50: D1D30030 04C2E370
	v_max3_f32 v48, v114, v115, v48                            // 000000022E58: D1D30030 04C2E772
	v_max3_f32 v48, v116, v117, v48                            // 000000022E60: D1D30030 04C2EB74
	v_max3_f32 v48, v118, v119, v48                            // 000000022E68: D1D30030 04C2EF76
	v_max3_f32 v48, v120, v121, v48                            // 000000022E70: D1D30030 04C2F378
	v_max3_f32 v48, v122, v123, v48                            // 000000022E78: D1D30030 04C2F77A
	v_max3_f32 v48, v124, v125, v48                            // 000000022E80: D1D30030 04C2FB7C
	v_max3_f32 v48, v126, v127, v48                            // 000000022E88: D1D30030 04C2FF7E
	ds_write_b32 v8, v48 offset:16896                          // 000000022E90: D81A4200 00003008
	buffer_load_dwordx4 a[24:27], v25, s[16:19], 0 offen       // 000000022E98: E05C1000 80841819
	v_mul_u32_u24_dpp v64, v16, v54 row_newbcast:1 row_mask:0xf bank_mask:0xf// 000000022EA0: 10806CFA FF015110
	v_mul_u32_u24_dpp v65, v16, v54 row_newbcast:5 row_mask:0xf bank_mask:0xf// 000000022EA8: 10826CFA FF015510
	v_mul_u32_u24_dpp v66, v16, v54 row_newbcast:9 row_mask:0xf bank_mask:0xf// 000000022EB0: 10846CFA FF015910
	v_mul_u32_u24_dpp v67, v16, v54 row_newbcast:13 row_mask:0xf bank_mask:0xf// 000000022EB8: 10866CFA FF015D10
	v_add_u32_e32 v30, v64, v6                                 // 000000022EC0: 683C0D40
	v_add_u32_e32 v31, v65, v6                                 // 000000022EC4: 683E0D41
	v_add_u32_e32 v32, v66, v6                                 // 000000022EC8: 68400D42
	v_add_u32_e32 v33, v67, v6                                 // 000000022ECC: 68420D43
	v_mul_f32_e32 v208, v49, v208                              // 000000022ED0: 0BA1A131
	v_mul_f32_e32 v209, v49, v209                              // 000000022ED4: 0BA3A331
	v_mul_f32_e32 v210, v49, v210                              // 000000022ED8: 0BA5A531
	v_mul_f32_e32 v211, v49, v211                              // 000000022EDC: 0BA7A731
	v_mul_f32_e32 v212, v49, v212                              // 000000022EE0: 0BA9A931
	v_mul_f32_e32 v213, v49, v213                              // 000000022EE4: 0BABAB31
	v_mul_f32_e32 v214, v49, v214                              // 000000022EE8: 0BADAD31
	v_mul_f32_e32 v215, v49, v215                              // 000000022EEC: 0BAFAF31
	s_waitcnt lgkmcnt(0)                                       // 000000022EF0: BF8CC07F
	s_barrier                                                  // 000000022EF4: BF8A0000
	ds_read_b32 v64, v7 offset:16896                           // 000000022EF8: D86C4200 40000007
	ds_read_b32 v65, v7 offset:16960                           // 000000022F00: D86C4240 41000007
	ds_read_b32 v66, v7 offset:17024                           // 000000022F08: D86C4280 42000007
	ds_read_b32 v67, v7 offset:17088                           // 000000022F10: D86C42C0 43000007
	ds_read_b32 v68, v7 offset:17152                           // 000000022F18: D86C4300 44000007
	ds_read_b32 v69, v7 offset:17216                           // 000000022F20: D86C4340 45000007
	ds_read_b32 v70, v7 offset:17280                           // 000000022F28: D86C4380 46000007
	ds_read_b32 v71, v7 offset:17344                           // 000000022F30: D86C43C0 47000007
	ds_read_b32 v72, v7 offset:17408                           // 000000022F38: D86C4400 48000007
	ds_read_b32 v73, v7 offset:17472                           // 000000022F40: D86C4440 49000007
	ds_read_b32 v74, v7 offset:17536                           // 000000022F48: D86C4480 4A000007
	ds_read_b32 v75, v7 offset:17600                           // 000000022F50: D86C44C0 4B000007
	ds_read_b32 v76, v7 offset:17664                           // 000000022F58: D86C4500 4C000007
	ds_read_b32 v77, v7 offset:17728                           // 000000022F60: D86C4540 4D000007
	ds_read_b32 v78, v7 offset:17792                           // 000000022F68: D86C4580 4E000007
	ds_read_b32 v79, v7 offset:17856                           // 000000022F70: D86C45C0 4F000007
	buffer_load_dwordx4 a[28:31], v25, s[16:19], 0 offen offset:1024// 000000022F78: E05C1400 80841C19
	v_cvt_f32_i32_e32 v176, v176                               // 000000022F80: 7F600BB0
	v_cvt_f32_i32_e32 v177, v177                               // 000000022F84: 7F620BB1
	v_cvt_f32_i32_e32 v178, v178                               // 000000022F88: 7F640BB2
	v_cvt_f32_i32_e32 v179, v179                               // 000000022F8C: 7F660BB3
	v_cvt_f32_i32_e32 v180, v180                               // 000000022F90: 7F680BB4
	v_cvt_f32_i32_e32 v181, v181                               // 000000022F94: 7F6A0BB5
	v_cvt_f32_i32_e32 v182, v182                               // 000000022F98: 7F6C0BB6
	v_cvt_f32_i32_e32 v183, v183                               // 000000022F9C: 7F6E0BB7
	v_mul_f32_e32 v176, v44, v176                              // 000000022FA0: 0B61612C
	v_mul_f32_e32 v177, v44, v177                              // 000000022FA4: 0B63632C
	v_mul_f32_e32 v178, v44, v178                              // 000000022FA8: 0B65652C
	v_mul_f32_e32 v179, v44, v179                              // 000000022FAC: 0B67672C
	v_mul_f32_e32 v180, v44, v180                              // 000000022FB0: 0B69692C
	v_mul_f32_e32 v181, v44, v181                              // 000000022FB4: 0B6B6B2C
	v_mul_f32_e32 v182, v44, v182                              // 000000022FB8: 0B6D6D2C
	v_mul_f32_e32 v183, v44, v183                              // 000000022FBC: 0B6F6F2C
	s_waitcnt lgkmcnt(0)                                       // 000000022FC0: BF8CC07F
	v_max3_f32 v48, v64, v65, v48                              // 000000022FC4: D1D30030 04C28340
	v_max3_f32 v48, v66, v67, v48                              // 000000022FCC: D1D30030 04C28742
	v_max3_f32 v48, v68, v69, v48                              // 000000022FD4: D1D30030 04C28B44
	v_max3_f32 v48, v70, v71, v48                              // 000000022FDC: D1D30030 04C28F46
	v_max3_f32 v48, v72, v73, v48                              // 000000022FE4: D1D30030 04C29348
	v_max3_f32 v48, v74, v75, v48                              // 000000022FEC: D1D30030 04C2974A
	v_max3_f32 v48, v76, v77, v48                              // 000000022FF4: D1D30030 04C29B4C
	v_max3_f32 v48, v78, v79, v48                              // 000000022FFC: D1D30030 04C29F4E
	buffer_load_dwordx4 a[64:67], v30, s[20:23], 0 offen       // 000000023004: E05C1000 8085401E
	v_mov_b32_e32 v64, 0xff800000                              // 00000002300C: 7E8002FF FF800000
	v_cmp_eq_u32_e64 s[40:41], v64, v11                        // 000000023014: D0CA0028 00021740
	s_nop 1                                                    // 00000002301C: BF800001
	v_max_f32_e32 v15, v48, v11                                // 000000023020: 161E1730
	v_mul_f32_e32 v53, s64, v15                                // 000000023024: 0A6A1E40
	v_fma_f32 v112, v112, s64, -v53                            // 000000023028: D1CB0070 84D48170
	v_fma_f32 v113, v113, s64, -v53                            // 000000023030: D1CB0071 84D48171
	v_fma_f32 v114, v114, s64, -v53                            // 000000023038: D1CB0072 84D48172
	v_fma_f32 v115, v115, s64, -v53                            // 000000023040: D1CB0073 84D48173
	v_fma_f32 v116, v116, s64, -v53                            // 000000023048: D1CB0074 84D48174
	v_fma_f32 v117, v117, s64, -v53                            // 000000023050: D1CB0075 84D48175
	v_fma_f32 v118, v118, s64, -v53                            // 000000023058: D1CB0076 84D48176
	v_fma_f32 v119, v119, s64, -v53                            // 000000023060: D1CB0077 84D48177
	v_fma_f32 v120, v120, s64, -v53                            // 000000023068: D1CB0078 84D48178
	v_fma_f32 v121, v121, s64, -v53                            // 000000023070: D1CB0079 84D48179
	v_fma_f32 v122, v122, s64, -v53                            // 000000023078: D1CB007A 84D4817A
	v_fma_f32 v123, v123, s64, -v53                            // 000000023080: D1CB007B 84D4817B
	v_fma_f32 v124, v124, s64, -v53                            // 000000023088: D1CB007C 84D4817C
	v_fma_f32 v125, v125, s64, -v53                            // 000000023090: D1CB007D 84D4817D
	v_fma_f32 v126, v126, s64, -v53                            // 000000023098: D1CB007E 84D4817E
	v_fma_f32 v127, v127, s64, -v53                            // 0000000230A0: D1CB007F 84D4817F
	buffer_load_dwordx4 a[68:71], v31, s[20:23], 0 offen       // 0000000230A8: E05C1000 8085441F
	v_exp_f32_e32 v112, v112                                   // 0000000230B0: 7EE04170
	v_exp_f32_e32 v113, v113                                   // 0000000230B4: 7EE24171
	v_exp_f32_e32 v114, v114                                   // 0000000230B8: 7EE44172
	v_exp_f32_e32 v115, v115                                   // 0000000230BC: 7EE64173
	v_exp_f32_e32 v116, v116                                   // 0000000230C0: 7EE84174
	v_exp_f32_e32 v117, v117                                   // 0000000230C4: 7EEA4175
	v_exp_f32_e32 v118, v118                                   // 0000000230C8: 7EEC4176
	v_exp_f32_e32 v119, v119                                   // 0000000230CC: 7EEE4177
	v_exp_f32_e32 v120, v120                                   // 0000000230D0: 7EF04178
	v_exp_f32_e32 v121, v121                                   // 0000000230D4: 7EF24179
	v_exp_f32_e32 v122, v122                                   // 0000000230D8: 7EF4417A
	v_exp_f32_e32 v123, v123                                   // 0000000230DC: 7EF6417B
	v_exp_f32_e32 v124, v124                                   // 0000000230E0: 7EF8417C
	v_exp_f32_e32 v125, v125                                   // 0000000230E4: 7EFA417D
	v_exp_f32_e32 v126, v126                                   // 0000000230E8: 7EFC417E
	v_exp_f32_e32 v127, v127                                   // 0000000230EC: 7EFE417F
	buffer_load_dwordx4 a[72:75], v32, s[20:23], 0 offen       // 0000000230F0: E05C1000 80854820
	v_mul_f32_dpp v240, v252, v112 quad_perm:[0,0,0,0] row_mask:0xf bank_mask:0xf// 0000000230F8: 0BE0E0FA FF0000FC
	v_mul_f32_dpp v241, v252, v113 quad_perm:[1,1,1,1] row_mask:0xf bank_mask:0xf// 000000023100: 0BE2E2FA FF0055FC
	v_mul_f32_dpp v242, v252, v114 quad_perm:[2,2,2,2] row_mask:0xf bank_mask:0xf// 000000023108: 0BE4E4FA FF00AAFC
	v_mul_f32_dpp v243, v252, v115 quad_perm:[3,3,3,3] row_mask:0xf bank_mask:0xf// 000000023110: 0BE6E6FA FF00FFFC
	v_mul_f32_dpp v244, v253, v116 quad_perm:[0,0,0,0] row_mask:0xf bank_mask:0xf// 000000023118: 0BE8E8FA FF0000FD
	v_mul_f32_dpp v245, v253, v117 quad_perm:[1,1,1,1] row_mask:0xf bank_mask:0xf// 000000023120: 0BEAEAFA FF0055FD
	v_mul_f32_dpp v246, v253, v118 quad_perm:[2,2,2,2] row_mask:0xf bank_mask:0xf// 000000023128: 0BECECFA FF00AAFD
	v_mul_f32_dpp v247, v253, v119 quad_perm:[3,3,3,3] row_mask:0xf bank_mask:0xf// 000000023130: 0BEEEEFA FF00FFFD
	v_mul_f32_dpp v248, v254, v120 quad_perm:[0,0,0,0] row_mask:0xf bank_mask:0xf// 000000023138: 0BF0F0FA FF0000FE
	v_mul_f32_dpp v249, v254, v121 quad_perm:[1,1,1,1] row_mask:0xf bank_mask:0xf// 000000023140: 0BF2F2FA FF0055FE
	v_mul_f32_dpp v250, v254, v122 quad_perm:[2,2,2,2] row_mask:0xf bank_mask:0xf// 000000023148: 0BF4F4FA FF00AAFE
	v_mul_f32_dpp v251, v254, v123 quad_perm:[3,3,3,3] row_mask:0xf bank_mask:0xf// 000000023150: 0BF6F6FA FF00FFFE
	v_mul_f32_dpp v252, v255, v124 quad_perm:[0,0,0,0] row_mask:0xf bank_mask:0xf// 000000023158: 0BF8F8FA FF0000FF
	v_mul_f32_dpp v253, v255, v125 quad_perm:[1,1,1,1] row_mask:0xf bank_mask:0xf// 000000023160: 0BFAFAFA FF0055FF
	v_mul_f32_dpp v254, v255, v126 quad_perm:[2,2,2,2] row_mask:0xf bank_mask:0xf// 000000023168: 0BFCFCFA FF00AAFF
	v_mul_f32_dpp v255, v255, v127 quad_perm:[3,3,3,3] row_mask:0xf bank_mask:0xf// 000000023170: 0BFEFEFA FF00FFFF
	v_mov_b32_e32 v48, 0x358637bd                              // 000000023178: 7E6002FF 358637BD
	v_max3_f32 v48, |v240|, |v241|, v48                        // 000000023180: D1D30330 04C3E3F0
	v_max3_f32 v48, |v242|, |v243|, v48                        // 000000023188: D1D30330 04C3E7F2
	v_max3_f32 v48, |v244|, |v245|, v48                        // 000000023190: D1D30330 04C3EBF4
	v_max3_f32 v48, |v246|, |v247|, v48                        // 000000023198: D1D30330 04C3EFF6
	v_max3_f32 v48, |v248|, |v249|, v48                        // 0000000231A0: D1D30330 04C3F3F8
	v_max3_f32 v48, |v250|, |v251|, v48                        // 0000000231A8: D1D30330 04C3F7FA
	v_max3_f32 v48, |v252|, |v253|, v48                        // 0000000231B0: D1D30330 04C3FBFC
	v_max3_f32 v48, |v254|, |v255|, v48                        // 0000000231B8: D1D30330 04C3FFFE
	buffer_load_dwordx4 a[76:79], v33, s[20:23], 0 offen       // 0000000231C0: E05C1000 80854C21
	ds_write_b32 v8, v48 offset:20992                          // 0000000231C8: D81A5200 00003008
	v_sub_f32_e32 v49, v11, v15                                // 0000000231D0: 04621F0B
	v_cndmask_b32_e64 v49, v49, 0, s[40:41]                    // 0000000231D4: D1000031 00A10131
	v_mov_b32_e32 v11, v15                                     // 0000000231DC: 7E16030F
	v_mul_f32_e32 v49, s64, v49                                // 0000000231E0: 0A626240
	v_exp_f32_e32 v49, v49                                     // 0000000231E4: 7E624131
	s_waitcnt lgkmcnt(0)                                       // 0000000231E8: BF8CC07F
	s_barrier                                                  // 0000000231EC: BF8A0000
	ds_read_b32 v64, v7 offset:20992                           // 0000000231F0: D86C5200 40000007
	ds_read_b32 v65, v7 offset:21056                           // 0000000231F8: D86C5240 41000007
	ds_read_b32 v66, v7 offset:21120                           // 000000023200: D86C5280 42000007
	ds_read_b32 v67, v7 offset:21184                           // 000000023208: D86C52C0 43000007
	ds_read_b32 v68, v7 offset:21248                           // 000000023210: D86C5300 44000007
	ds_read_b32 v69, v7 offset:21312                           // 000000023218: D86C5340 45000007
	ds_read_b32 v70, v7 offset:21376                           // 000000023220: D86C5380 46000007
	ds_read_b32 v71, v7 offset:21440                           // 000000023228: D86C53C0 47000007
	ds_read_b32 v72, v7 offset:21504                           // 000000023230: D86C5400 48000007
	ds_read_b32 v73, v7 offset:21568                           // 000000023238: D86C5440 49000007
	ds_read_b32 v74, v7 offset:21632                           // 000000023240: D86C5480 4A000007
	ds_read_b32 v75, v7 offset:21696                           // 000000023248: D86C54C0 4B000007
	ds_read_b32 v76, v7 offset:21760                           // 000000023250: D86C5500 4C000007
	ds_read_b32 v77, v7 offset:21824                           // 000000023258: D86C5540 4D000007
	ds_read_b32 v78, v7 offset:21888                           // 000000023260: D86C5580 4E000007
	ds_read_b32 v79, v7 offset:21952                           // 000000023268: D86C55C0 4F000007
	v_mul_f32_e32 v38, v49, v38                                // 000000023270: 0A4C4D31
	v_mov_b32_e32 v15, v112                                    // 000000023274: 7E1E0370
	v_add_f32_e32 v15, v113, v15                               // 000000023278: 021E1F71
	v_add_f32_e32 v15, v114, v15                               // 00000002327C: 021E1F72
	v_add_f32_e32 v15, v115, v15                               // 000000023280: 021E1F73
	v_add_f32_e32 v15, v116, v15                               // 000000023284: 021E1F74
	v_add_f32_e32 v15, v117, v15                               // 000000023288: 021E1F75
	v_add_f32_e32 v15, v118, v15                               // 00000002328C: 021E1F76
	v_add_f32_e32 v15, v119, v15                               // 000000023290: 021E1F77
	v_add_f32_e32 v15, v120, v15                               // 000000023294: 021E1F78
	v_add_f32_e32 v15, v121, v15                               // 000000023298: 021E1F79
	v_add_f32_e32 v15, v122, v15                               // 00000002329C: 021E1F7A
	v_add_f32_e32 v15, v123, v15                               // 0000000232A0: 021E1F7B
	v_add_f32_e32 v15, v124, v15                               // 0000000232A4: 021E1F7C
	v_add_f32_e32 v15, v125, v15                               // 0000000232A8: 021E1F7D
	v_add_f32_e32 v15, v126, v15                               // 0000000232AC: 021E1F7E
	v_add_f32_e32 v15, v127, v15                               // 0000000232B0: 021E1F7F
	v_add_f32_e32 v38, v15, v38                                // 0000000232B4: 024C4D0F
	s_waitcnt lgkmcnt(0)                                       // 0000000232B8: BF8CC07F
	v_max3_f32 v48, |v64|, |v65|, v48                          // 0000000232BC: D1D30330 04C28340
	v_max3_f32 v48, |v66|, |v67|, v48                          // 0000000232C4: D1D30330 04C28742
	v_max3_f32 v48, |v68|, |v69|, v48                          // 0000000232CC: D1D30330 04C28B44
	v_max3_f32 v48, |v70|, |v71|, v48                          // 0000000232D4: D1D30330 04C28F46
	v_max3_f32 v48, |v72|, |v73|, v48                          // 0000000232DC: D1D30330 04C29348
	v_max3_f32 v48, |v74|, |v75|, v48                          // 0000000232E4: D1D30330 04C2974A
	v_max3_f32 v48, |v76|, |v77|, v48                          // 0000000232EC: D1D30330 04C29B4C
	v_max3_f32 v48, |v78|, |v79|, v48                          // 0000000232F4: D1D30330 04C29F4E
	s_nop 2                                                    // 0000000232FC: BF800002
	v_rcp_f32_e32 v48, v48                                     // 000000023300: 7E604530
	s_nop 1                                                    // 000000023304: BF800001
	v_mul_f32_e32 v48, 0x42fe0000, v48                         // 000000023308: 0A6060FF 42FE0000
	v_mul_f32_e32 v112, v48, v240                              // 000000023310: 0AE1E130
	v_mul_f32_e32 v113, v48, v241                              // 000000023314: 0AE3E330
	v_mul_f32_e32 v114, v48, v242                              // 000000023318: 0AE5E530
	v_mul_f32_e32 v115, v48, v243                              // 00000002331C: 0AE7E730
	v_mul_f32_e32 v116, v48, v244                              // 000000023320: 0AE9E930
	v_mul_f32_e32 v117, v48, v245                              // 000000023324: 0AEBEB30
	v_mul_f32_e32 v118, v48, v246                              // 000000023328: 0AEDED30
	v_mul_f32_e32 v119, v48, v247                              // 00000002332C: 0AEFEF30
	v_mul_f32_e32 v120, v48, v248                              // 000000023330: 0AF1F130
	v_mul_f32_e32 v121, v48, v249                              // 000000023334: 0AF3F330
	v_mul_f32_e32 v122, v48, v250                              // 000000023338: 0AF5F530
	v_mul_f32_e32 v123, v48, v251                              // 00000002333C: 0AF7F730
	v_mul_f32_e32 v124, v48, v252                              // 000000023340: 0AF9F930
	v_mul_f32_e32 v125, v48, v253                              // 000000023344: 0AFBFB30
	v_mul_f32_e32 v126, v48, v254                              // 000000023348: 0AFDFD30
	v_mul_f32_e32 v127, v48, v255                              // 00000002334C: 0AFFFF30
	v_cvt_i32_f32_e32 v112, v112                               // 000000023350: 7EE01170
	v_cvt_i32_f32_e32 v113, v113                               // 000000023354: 7EE21171
	v_cvt_i32_f32_e32 v114, v114                               // 000000023358: 7EE41172
	v_cvt_i32_f32_e32 v115, v115                               // 00000002335C: 7EE61173
	v_cvt_i32_f32_e32 v116, v116                               // 000000023360: 7EE81174
	v_cvt_i32_f32_e32 v117, v117                               // 000000023364: 7EEA1175
	v_cvt_i32_f32_e32 v118, v118                               // 000000023368: 7EEC1176
	v_cvt_i32_f32_e32 v119, v119                               // 00000002336C: 7EEE1177
	v_cvt_i32_f32_e32 v120, v120                               // 000000023370: 7EF01178
	v_cvt_i32_f32_e32 v121, v121                               // 000000023374: 7EF21179
	v_cvt_i32_f32_e32 v122, v122                               // 000000023378: 7EF4117A
	v_cvt_i32_f32_e32 v123, v123                               // 00000002337C: 7EF6117B
	v_cvt_i32_f32_e32 v124, v124                               // 000000023380: 7EF8117C
	v_cvt_i32_f32_e32 v125, v125                               // 000000023384: 7EFA117D
	v_cvt_i32_f32_e32 v126, v126                               // 000000023388: 7EFC117E
	v_cvt_i32_f32_e32 v127, v127                               // 00000002338C: 7EFE117F
	v_perm_b32 v112, v113, v112, s53                           // 000000023390: D1ED0070 00D6E171
	v_perm_b32 v112, v114, v112, s54                           // 000000023398: D1ED0070 00DAE172
	v_perm_b32 v112, v115, v112, s55                           // 0000000233A0: D1ED0070 00DEE173
	v_perm_b32 v113, v117, v116, s53                           // 0000000233A8: D1ED0071 00D6E975
	v_perm_b32 v113, v118, v113, s54                           // 0000000233B0: D1ED0071 00DAE376
	v_perm_b32 v113, v119, v113, s55                           // 0000000233B8: D1ED0071 00DEE377
	v_perm_b32 v114, v121, v120, s53                           // 0000000233C0: D1ED0072 00D6F179
	v_perm_b32 v114, v122, v114, s54                           // 0000000233C8: D1ED0072 00DAE57A
	v_perm_b32 v114, v123, v114, s55                           // 0000000233D0: D1ED0072 00DEE57B
	v_perm_b32 v115, v125, v124, s53                           // 0000000233D8: D1ED0073 00D6F97D
	v_perm_b32 v115, v126, v115, s54                           // 0000000233E0: D1ED0073 00DAE77E
	v_perm_b32 v115, v127, v115, s55                           // 0000000233E8: D1ED0073 00DEE77F
	ds_write_b32 v10, v112 offset:25088                        // 0000000233F0: D81A6200 0000700A
	ds_write_b32 v10, v113 offset:26112                        // 0000000233F8: D81A6600 0000710A
	ds_write_b32 v10, v114 offset:27136                        // 000000023400: D81A6A00 0000720A
	ds_write_b32 v10, v115 offset:28160                        // 000000023408: D81A6E00 0000730A
	v_add_f32_e32 v208, v208, v176                             // 000000023410: 03A161D0
	v_add_f32_e32 v209, v209, v177                             // 000000023414: 03A363D1
	v_add_f32_e32 v210, v210, v178                             // 000000023418: 03A565D2
	v_add_f32_e32 v211, v211, v179                             // 00000002341C: 03A767D3
	v_add_f32_e32 v212, v212, v180                             // 000000023420: 03A969D4
	v_add_f32_e32 v213, v213, v181                             // 000000023424: 03AB6BD5
	v_add_f32_e32 v214, v214, v182                             // 000000023428: 03AD6DD6
	v_add_f32_e32 v215, v215, v183                             // 00000002342C: 03AF6FD7
	v_rcp_f32_e32 v44, v48                                     // 000000023430: 7E584530
	s_waitcnt lgkmcnt(0)                                       // 000000023434: BF8CC07F
	s_barrier                                                  // 000000023438: BF8A0000
	ds_read_b64 v[112:113], v9 offset:25088                    // 00000002343C: D8EC6200 70000009
	ds_read_b64 v[114:115], v9 offset:25216                    // 000000023444: D8EC6280 72000009
	ds_read_b64 v[116:117], v9 offset:26112                    // 00000002344C: D8EC6600 74000009
	ds_read_b64 v[118:119], v9 offset:26240                    // 000000023454: D8EC6680 76000009
	ds_read_b64 v[120:121], v9 offset:27136                    // 00000002345C: D8EC6A00 78000009
	ds_read_b64 v[122:123], v9 offset:27264                    // 000000023464: D8EC6A80 7A000009
	ds_read_b64 v[124:125], v9 offset:28160                    // 00000002346C: D8EC6E00 7C000009
	ds_read_b64 v[126:127], v9 offset:28288                    // 000000023474: D8EC6E80 7E000009
	v_mov_b32_dpp v64, v43 row_shr:4 row_mask:0xf bank_mask:0xf// 00000002347C: 7E8002FA FF01142B
	v_mov_b32_dpp v65, v43 row_shl:4 row_mask:0xf bank_mask:0xf// 000000023484: 7E8202FA FF01042B
	v_cndmask_b32_e64 v248, v43, v64, s[44:45]                 // 00000002348C: D10000F8 00B2812B
	v_cndmask_b32_e64 v249, v65, v43, s[44:45]                 // 000000023494: D10000F9 00B25741
	v_mov_b32_dpp v64, v248 row_shr:8 row_mask:0xf bank_mask:0xf// 00000002349C: 7E8002FA FF0118F8
	v_mov_b32_dpp v65, v248 row_shl:8 row_mask:0xf bank_mask:0xf// 0000000234A4: 7E8202FA FF0108F8
	v_mov_b32_dpp v66, v249 row_shr:8 row_mask:0xf bank_mask:0xf// 0000000234AC: 7E8402FA FF0118F9
	v_mov_b32_dpp v67, v249 row_shl:8 row_mask:0xf bank_mask:0xf// 0000000234B4: 7E8602FA FF0108F9
	v_mov_b32_e32 v68, v248                                    // 0000000234BC: 7E8803F8
	v_mov_b32_e32 v69, v249                                    // 0000000234C0: 7E8A03F9
	v_cndmask_b32_e64 v248, v68, v64, s[42:43]                 // 0000000234C4: D10000F8 00AA8144
	v_cndmask_b32_e64 v250, v68, v65, s[78:79]                 // 0000000234CC: D10000FA 013A8344
	v_cndmask_b32_e64 v249, v69, v66, s[42:43]                 // 0000000234D4: D10000F9 00AA8545
	v_cndmask_b32_e64 v251, v69, v67, s[78:79]                 // 0000000234DC: D10000FB 013A8745
	v_mov_b32_dpp v64, v58 row_shr:4 row_mask:0xf bank_mask:0xf// 0000000234E4: 7E8002FA FF01143A
	v_mov_b32_dpp v65, v58 row_shl:4 row_mask:0xf bank_mask:0xf// 0000000234EC: 7E8202FA FF01043A
	v_cndmask_b32_e64 v252, v58, v64, s[44:45]                 // 0000000234F4: D10000FC 00B2813A
	v_cndmask_b32_e64 v253, v65, v58, s[44:45]                 // 0000000234FC: D10000FD 00B27541
	v_mov_b32_dpp v64, v252 row_shr:8 row_mask:0xf bank_mask:0xf// 000000023504: 7E8002FA FF0118FC
	v_mov_b32_dpp v65, v252 row_shl:8 row_mask:0xf bank_mask:0xf// 00000002350C: 7E8202FA FF0108FC
	v_mov_b32_dpp v66, v253 row_shr:8 row_mask:0xf bank_mask:0xf// 000000023514: 7E8402FA FF0118FD
	v_mov_b32_dpp v67, v253 row_shl:8 row_mask:0xf bank_mask:0xf// 00000002351C: 7E8602FA FF0108FD
	v_mov_b32_e32 v68, v252                                    // 000000023524: 7E8803FC
	v_mov_b32_e32 v69, v253                                    // 000000023528: 7E8A03FD
	v_cndmask_b32_e64 v252, v68, v64, s[42:43]                 // 00000002352C: D10000FC 00AA8144
	v_cndmask_b32_e64 v254, v68, v65, s[78:79]                 // 000000023534: D10000FE 013A8344
	v_cndmask_b32_e64 v253, v69, v66, s[42:43]                 // 00000002353C: D10000FD 00AA8545
	v_cndmask_b32_e64 v255, v69, v67, s[78:79]                 // 000000023544: D10000FF 013A8745
	v_cvt_f32_i32_e32 v128, v128                               // 00000002354C: 7F000B80
	v_cvt_f32_i32_e32 v129, v129                               // 000000023550: 7F020B81
	v_cvt_f32_i32_e32 v130, v130                               // 000000023554: 7F040B82
	v_cvt_f32_i32_e32 v131, v131                               // 000000023558: 7F060B83
	v_cvt_f32_i32_e32 v132, v132                               // 00000002355C: 7F080B84
	v_cvt_f32_i32_e32 v133, v133                               // 000000023560: 7F0A0B85
	v_cvt_f32_i32_e32 v134, v134                               // 000000023564: 7F0C0B86
	v_cvt_f32_i32_e32 v135, v135                               // 000000023568: 7F0E0B87
	v_cvt_f32_i32_e32 v136, v136                               // 00000002356C: 7F100B88
	v_cvt_f32_i32_e32 v137, v137                               // 000000023570: 7F120B89
	v_cvt_f32_i32_e32 v138, v138                               // 000000023574: 7F140B8A
	v_cvt_f32_i32_e32 v139, v139                               // 000000023578: 7F160B8B
	v_cvt_f32_i32_e32 v140, v140                               // 00000002357C: 7F180B8C
	v_cvt_f32_i32_e32 v141, v141                               // 000000023580: 7F1A0B8D
	v_cvt_f32_i32_e32 v142, v142                               // 000000023584: 7F1C0B8E
	v_cvt_f32_i32_e32 v143, v143                               // 000000023588: 7F1E0B8F
	v_mul_f32_e32 v128, v19, v128                              // 00000002358C: 0B010113
	v_mul_f32_e32 v129, v19, v129                              // 000000023590: 0B030313
	v_mul_f32_e32 v130, v19, v130                              // 000000023594: 0B050513
	v_mul_f32_e32 v131, v19, v131                              // 000000023598: 0B070713
	v_mul_f32_e32 v132, v19, v132                              // 00000002359C: 0B090913
	v_mul_f32_e32 v133, v19, v133                              // 0000000235A0: 0B0B0B13
	v_mul_f32_e32 v134, v19, v134                              // 0000000235A4: 0B0D0D13
	v_mul_f32_e32 v135, v19, v135                              // 0000000235A8: 0B0F0F13
	v_mul_f32_e32 v136, v19, v136                              // 0000000235AC: 0B111113
	v_mul_f32_e32 v137, v19, v137                              // 0000000235B0: 0B131313
	v_mul_f32_e32 v138, v19, v138                              // 0000000235B4: 0B151513
	v_mul_f32_e32 v139, v19, v139                              // 0000000235B8: 0B171713
	v_mul_f32_e32 v140, v19, v140                              // 0000000235BC: 0B191913
	v_mul_f32_e32 v141, v19, v141                              // 0000000235C0: 0B1B1B13
	v_mul_f32_e32 v142, v19, v142                              // 0000000235C4: 0B1D1D13
	v_mul_f32_e32 v143, v19, v143                              // 0000000235C8: 0B1F1F13
	v_mul_f32_dpp v128, v248, v128 quad_perm:[0,0,0,0] row_mask:0xf bank_mask:0xf// 0000000235CC: 0B0100FA FF0000F8
	v_mul_f32_dpp v129, v248, v129 quad_perm:[1,1,1,1] row_mask:0xf bank_mask:0xf// 0000000235D4: 0B0302FA FF0055F8
	v_mul_f32_dpp v130, v248, v130 quad_perm:[2,2,2,2] row_mask:0xf bank_mask:0xf// 0000000235DC: 0B0504FA FF00AAF8
	v_mul_f32_dpp v131, v248, v131 quad_perm:[3,3,3,3] row_mask:0xf bank_mask:0xf// 0000000235E4: 0B0706FA FF00FFF8
	v_mul_f32_dpp v132, v249, v132 quad_perm:[0,0,0,0] row_mask:0xf bank_mask:0xf// 0000000235EC: 0B0908FA FF0000F9
	v_mul_f32_dpp v133, v249, v133 quad_perm:[1,1,1,1] row_mask:0xf bank_mask:0xf// 0000000235F4: 0B0B0AFA FF0055F9
	v_mul_f32_dpp v134, v249, v134 quad_perm:[2,2,2,2] row_mask:0xf bank_mask:0xf// 0000000235FC: 0B0D0CFA FF00AAF9
	v_mul_f32_dpp v135, v249, v135 quad_perm:[3,3,3,3] row_mask:0xf bank_mask:0xf// 000000023604: 0B0F0EFA FF00FFF9
	v_mul_f32_dpp v136, v250, v136 quad_perm:[0,0,0,0] row_mask:0xf bank_mask:0xf// 00000002360C: 0B1110FA FF0000FA
	v_mul_f32_dpp v137, v250, v137 quad_perm:[1,1,1,1] row_mask:0xf bank_mask:0xf// 000000023614: 0B1312FA FF0055FA
	v_mul_f32_dpp v138, v250, v138 quad_perm:[2,2,2,2] row_mask:0xf bank_mask:0xf// 00000002361C: 0B1514FA FF00AAFA
	v_mul_f32_dpp v139, v250, v139 quad_perm:[3,3,3,3] row_mask:0xf bank_mask:0xf// 000000023624: 0B1716FA FF00FFFA
	v_mul_f32_dpp v140, v251, v140 quad_perm:[0,0,0,0] row_mask:0xf bank_mask:0xf// 00000002362C: 0B1918FA FF0000FB
	v_mul_f32_dpp v141, v251, v141 quad_perm:[1,1,1,1] row_mask:0xf bank_mask:0xf// 000000023634: 0B1B1AFA FF0055FB
	v_mul_f32_dpp v142, v251, v142 quad_perm:[2,2,2,2] row_mask:0xf bank_mask:0xf// 00000002363C: 0B1D1CFA FF00AAFB
	v_mul_f32_dpp v143, v251, v143 quad_perm:[3,3,3,3] row_mask:0xf bank_mask:0xf// 000000023644: 0B1F1EFA FF00FFFB
	s_cmp_le_i32 s90, s89                                      // 00000002364C: BF05595A
	s_cbranch_scc1 label_8586                                  // 000000023650: BF850071
	v_mov_b32_e32 v66, 0xff800000                              // 000000023654: 7E8402FF FF800000
	s_mov_b32 s60, s90                                         // 00000002365C: BEBC005A
	s_add_u32 s61, s89, 0xff                                   // 000000023660: 803DFF59 000000FF
	v_mov_b32_e32 v64, s61                                     // 000000023668: 7E80023D
	v_lshrrev_b32_e32 v240, 4, v0                              // 00000002366C: 21E00084
	v_mul_i32_i24_e32 v240, 4, v240                            // 000000023670: 0DE1E084
	v_add_u32_e32 v240, s60, v240                              // 000000023674: 69E1E03C
	s_mov_b32 s61, 1                                           // 000000023678: BEBD0081
	s_mul_i32 s60, 16, s7                                      // 00000002367C: 923C0790
	v_sub_u32_e64 v240, v240, s61                              // 000000023680: D13500F0 00007BF0
	v_add_u32_e32 v240, s60, v240                              // 000000023688: 69E1E03C
	v_add_u32_e32 v241, 1, v240                                // 00000002368C: 69E3E081
	v_add_u32_e32 v242, 2, v240                                // 000000023690: 69E5E082
	v_add_u32_e32 v243, 3, v240                                // 000000023694: 69E7E083
	v_cmp_le_u32_e64 s[40:41], v240, v64                       // 000000023698: D0CB0028 000281F0
	v_add_u32_e32 v240, 64, v240                               // 0000000236A0: 69E1E0C0
	s_nop 0                                                    // 0000000236A4: BF800000
	v_cndmask_b32_e64 v128, v66, v128, s[40:41]                // 0000000236A8: D1000080 00A30142
	v_cmp_le_u32_e64 s[40:41], v241, v64                       // 0000000236B0: D0CB0028 000281F1
	v_add_u32_e32 v241, 64, v241                               // 0000000236B8: 69E3E2C0
	s_nop 0                                                    // 0000000236BC: BF800000
	v_cndmask_b32_e64 v129, v66, v129, s[40:41]                // 0000000236C0: D1000081 00A30342
	v_cmp_le_u32_e64 s[40:41], v242, v64                       // 0000000236C8: D0CB0028 000281F2
	v_add_u32_e32 v242, 64, v242                               // 0000000236D0: 69E5E4C0
	s_nop 0                                                    // 0000000236D4: BF800000
	v_cndmask_b32_e64 v130, v66, v130, s[40:41]                // 0000000236D8: D1000082 00A30542
	v_cmp_le_u32_e64 s[40:41], v243, v64                       // 0000000236E0: D0CB0028 000281F3
	v_add_u32_e32 v243, 64, v243                               // 0000000236E8: 69E7E6C0
	s_nop 0                                                    // 0000000236EC: BF800000
	v_cndmask_b32_e64 v131, v66, v131, s[40:41]                // 0000000236F0: D1000083 00A30742
	v_cmp_le_u32_e64 s[40:41], v240, v64                       // 0000000236F8: D0CB0028 000281F0
	v_add_u32_e32 v240, 64, v240                               // 000000023700: 69E1E0C0
	s_nop 0                                                    // 000000023704: BF800000
	v_cndmask_b32_e64 v132, v66, v132, s[40:41]                // 000000023708: D1000084 00A30942
	v_cmp_le_u32_e64 s[40:41], v241, v64                       // 000000023710: D0CB0028 000281F1
	v_add_u32_e32 v241, 64, v241                               // 000000023718: 69E3E2C0
	s_nop 0                                                    // 00000002371C: BF800000
	v_cndmask_b32_e64 v133, v66, v133, s[40:41]                // 000000023720: D1000085 00A30B42
	v_cmp_le_u32_e64 s[40:41], v242, v64                       // 000000023728: D0CB0028 000281F2
	v_add_u32_e32 v242, 64, v242                               // 000000023730: 69E5E4C0
	s_nop 0                                                    // 000000023734: BF800000
	v_cndmask_b32_e64 v134, v66, v134, s[40:41]                // 000000023738: D1000086 00A30D42
	v_cmp_le_u32_e64 s[40:41], v243, v64                       // 000000023740: D0CB0028 000281F3
	v_add_u32_e32 v243, 64, v243                               // 000000023748: 69E7E6C0
	s_nop 0                                                    // 00000002374C: BF800000
	v_cndmask_b32_e64 v135, v66, v135, s[40:41]                // 000000023750: D1000087 00A30F42
	v_cmp_le_u32_e64 s[40:41], v240, v64                       // 000000023758: D0CB0028 000281F0
	v_add_u32_e32 v240, 64, v240                               // 000000023760: 69E1E0C0
	s_nop 0                                                    // 000000023764: BF800000
	v_cndmask_b32_e64 v136, v66, v136, s[40:41]                // 000000023768: D1000088 00A31142
	v_cmp_le_u32_e64 s[40:41], v241, v64                       // 000000023770: D0CB0028 000281F1
	v_add_u32_e32 v241, 64, v241                               // 000000023778: 69E3E2C0
	s_nop 0                                                    // 00000002377C: BF800000
	v_cndmask_b32_e64 v137, v66, v137, s[40:41]                // 000000023780: D1000089 00A31342
	v_cmp_le_u32_e64 s[40:41], v242, v64                       // 000000023788: D0CB0028 000281F2
	v_add_u32_e32 v242, 64, v242                               // 000000023790: 69E5E4C0
	s_nop 0                                                    // 000000023794: BF800000
	v_cndmask_b32_e64 v138, v66, v138, s[40:41]                // 000000023798: D100008A 00A31542
	v_cmp_le_u32_e64 s[40:41], v243, v64                       // 0000000237A0: D0CB0028 000281F3
	v_add_u32_e32 v243, 64, v243                               // 0000000237A8: 69E7E6C0
	s_nop 0                                                    // 0000000237AC: BF800000
	v_cndmask_b32_e64 v139, v66, v139, s[40:41]                // 0000000237B0: D100008B 00A31742
	v_cmp_le_u32_e64 s[40:41], v240, v64                       // 0000000237B8: D0CB0028 000281F0
	v_add_u32_e32 v240, 64, v240                               // 0000000237C0: 69E1E0C0
	s_nop 0                                                    // 0000000237C4: BF800000
	v_cndmask_b32_e64 v140, v66, v140, s[40:41]                // 0000000237C8: D100008C 00A31942
	v_cmp_le_u32_e64 s[40:41], v241, v64                       // 0000000237D0: D0CB0028 000281F1
	v_add_u32_e32 v241, 64, v241                               // 0000000237D8: 69E3E2C0
	s_nop 0                                                    // 0000000237DC: BF800000
	v_cndmask_b32_e64 v141, v66, v141, s[40:41]                // 0000000237E0: D100008D 00A31B42
	v_cmp_le_u32_e64 s[40:41], v242, v64                       // 0000000237E8: D0CB0028 000281F2
	v_add_u32_e32 v242, 64, v242                               // 0000000237F0: 69E5E4C0
	s_nop 0                                                    // 0000000237F4: BF800000
	v_cndmask_b32_e64 v142, v66, v142, s[40:41]                // 0000000237F8: D100008E 00A31D42
	v_cmp_le_u32_e64 s[40:41], v243, v64                       // 000000023800: D0CB0028 000281F3
	v_add_u32_e32 v243, 64, v243                               // 000000023808: 69E7E6C0
	s_nop 0                                                    // 00000002380C: BF800000
	v_cndmask_b32_e64 v143, v66, v143, s[40:41]                // 000000023810: D100008F 00A31F42

0000000000023818 <label_8586>:
	v_mov_b32_e32 v48, v128                                    // 000000023818: 7E600380
	v_max3_f32 v48, v128, v129, v48                            // 00000002381C: D1D30030 04C30380
	v_max3_f32 v48, v130, v131, v48                            // 000000023824: D1D30030 04C30782
	v_max3_f32 v48, v132, v133, v48                            // 00000002382C: D1D30030 04C30B84
	v_max3_f32 v48, v134, v135, v48                            // 000000023834: D1D30030 04C30F86
	v_max3_f32 v48, v136, v137, v48                            // 00000002383C: D1D30030 04C31388
	v_max3_f32 v48, v138, v139, v48                            // 000000023844: D1D30030 04C3178A
	v_max3_f32 v48, v140, v141, v48                            // 00000002384C: D1D30030 04C31B8C
	v_max3_f32 v48, v142, v143, v48                            // 000000023854: D1D30030 04C31F8E
	ds_write_b32 v8, v48 offset:16896                          // 00000002385C: D81A4200 00003008
	v_mul_f32_e32 v216, v50, v216                              // 000000023864: 0BB1B132
	v_mul_f32_e32 v217, v50, v217                              // 000000023868: 0BB3B332
	v_mul_f32_e32 v218, v50, v218                              // 00000002386C: 0BB5B532
	v_mul_f32_e32 v219, v50, v219                              // 000000023870: 0BB7B732
	v_mul_f32_e32 v220, v50, v220                              // 000000023874: 0BB9B932
	v_mul_f32_e32 v221, v50, v221                              // 000000023878: 0BBBBB32
	v_mul_f32_e32 v222, v50, v222                              // 00000002387C: 0BBDBD32
	v_mul_f32_e32 v223, v50, v223                              // 000000023880: 0BBFBF32
	s_waitcnt lgkmcnt(0)                                       // 000000023884: BF8CC07F
	s_barrier                                                  // 000000023888: BF8A0000
	ds_read_b32 v64, v7 offset:16896                           // 00000002388C: D86C4200 40000007
	ds_read_b32 v65, v7 offset:16960                           // 000000023894: D86C4240 41000007
	ds_read_b32 v66, v7 offset:17024                           // 00000002389C: D86C4280 42000007
	ds_read_b32 v67, v7 offset:17088                           // 0000000238A4: D86C42C0 43000007
	ds_read_b32 v68, v7 offset:17152                           // 0000000238AC: D86C4300 44000007
	ds_read_b32 v69, v7 offset:17216                           // 0000000238B4: D86C4340 45000007
	ds_read_b32 v70, v7 offset:17280                           // 0000000238BC: D86C4380 46000007
	ds_read_b32 v71, v7 offset:17344                           // 0000000238C4: D86C43C0 47000007
	ds_read_b32 v72, v7 offset:17408                           // 0000000238CC: D86C4400 48000007
	ds_read_b32 v73, v7 offset:17472                           // 0000000238D4: D86C4440 49000007
	ds_read_b32 v74, v7 offset:17536                           // 0000000238DC: D86C4480 4A000007
	ds_read_b32 v75, v7 offset:17600                           // 0000000238E4: D86C44C0 4B000007
	ds_read_b32 v76, v7 offset:17664                           // 0000000238EC: D86C4500 4C000007
	ds_read_b32 v77, v7 offset:17728                           // 0000000238F4: D86C4540 4D000007
	ds_read_b32 v78, v7 offset:17792                           // 0000000238FC: D86C4580 4E000007
	ds_read_b32 v79, v7 offset:17856                           // 000000023904: D86C45C0 4F000007
	v_cvt_f32_i32_e32 v184, v184                               // 00000002390C: 7F700BB8
	v_cvt_f32_i32_e32 v185, v185                               // 000000023910: 7F720BB9
	v_cvt_f32_i32_e32 v186, v186                               // 000000023914: 7F740BBA
	v_cvt_f32_i32_e32 v187, v187                               // 000000023918: 7F760BBB
	v_cvt_f32_i32_e32 v188, v188                               // 00000002391C: 7F780BBC
	v_cvt_f32_i32_e32 v189, v189                               // 000000023920: 7F7A0BBD
	v_cvt_f32_i32_e32 v190, v190                               // 000000023924: 7F7C0BBE
	v_cvt_f32_i32_e32 v191, v191                               // 000000023928: 7F7E0BBF
	v_mul_f32_e32 v184, v45, v184                              // 00000002392C: 0B71712D
	v_mul_f32_e32 v185, v45, v185                              // 000000023930: 0B73732D
	v_mul_f32_e32 v186, v45, v186                              // 000000023934: 0B75752D
	v_mul_f32_e32 v187, v45, v187                              // 000000023938: 0B77772D
	v_mul_f32_e32 v188, v45, v188                              // 00000002393C: 0B79792D
	v_mul_f32_e32 v189, v45, v189                              // 000000023940: 0B7B7B2D
	v_mul_f32_e32 v190, v45, v190                              // 000000023944: 0B7D7D2D
	v_mul_f32_e32 v191, v45, v191                              // 000000023948: 0B7F7F2D
	s_waitcnt lgkmcnt(0)                                       // 00000002394C: BF8CC07F
	v_max3_f32 v48, v64, v65, v48                              // 000000023950: D1D30030 04C28340
	v_max3_f32 v48, v66, v67, v48                              // 000000023958: D1D30030 04C28742
	v_max3_f32 v48, v68, v69, v48                              // 000000023960: D1D30030 04C28B44
	v_max3_f32 v48, v70, v71, v48                              // 000000023968: D1D30030 04C28F46
	v_max3_f32 v48, v72, v73, v48                              // 000000023970: D1D30030 04C29348
	v_max3_f32 v48, v74, v75, v48                              // 000000023978: D1D30030 04C2974A
	v_max3_f32 v48, v76, v77, v48                              // 000000023980: D1D30030 04C29B4C
	v_max3_f32 v48, v78, v79, v48                              // 000000023988: D1D30030 04C29F4E
	v_mov_b32_e32 v64, 0xff800000                              // 000000023990: 7E8002FF FF800000
	v_cmp_eq_u32_e64 s[40:41], v64, v12                        // 000000023998: D0CA0028 00021940
	s_nop 1                                                    // 0000000239A0: BF800001
	v_max_f32_e32 v15, v48, v12                                // 0000000239A4: 161E1930
	v_mul_f32_e32 v53, s64, v15                                // 0000000239A8: 0A6A1E40
	v_fma_f32 v128, v128, s64, -v53                            // 0000000239AC: D1CB0080 84D48180
	v_fma_f32 v129, v129, s64, -v53                            // 0000000239B4: D1CB0081 84D48181
	v_fma_f32 v130, v130, s64, -v53                            // 0000000239BC: D1CB0082 84D48182
	v_fma_f32 v131, v131, s64, -v53                            // 0000000239C4: D1CB0083 84D48183
	v_fma_f32 v132, v132, s64, -v53                            // 0000000239CC: D1CB0084 84D48184
	v_fma_f32 v133, v133, s64, -v53                            // 0000000239D4: D1CB0085 84D48185
	v_fma_f32 v134, v134, s64, -v53                            // 0000000239DC: D1CB0086 84D48186
	v_fma_f32 v135, v135, s64, -v53                            // 0000000239E4: D1CB0087 84D48187
	v_fma_f32 v136, v136, s64, -v53                            // 0000000239EC: D1CB0088 84D48188
	v_fma_f32 v137, v137, s64, -v53                            // 0000000239F4: D1CB0089 84D48189
	v_fma_f32 v138, v138, s64, -v53                            // 0000000239FC: D1CB008A 84D4818A
	v_fma_f32 v139, v139, s64, -v53                            // 000000023A04: D1CB008B 84D4818B
	v_fma_f32 v140, v140, s64, -v53                            // 000000023A0C: D1CB008C 84D4818C
	v_fma_f32 v141, v141, s64, -v53                            // 000000023A14: D1CB008D 84D4818D
	v_fma_f32 v142, v142, s64, -v53                            // 000000023A1C: D1CB008E 84D4818E
	v_fma_f32 v143, v143, s64, -v53                            // 000000023A24: D1CB008F 84D4818F
	v_exp_f32_e32 v128, v128                                   // 000000023A2C: 7F004180
	v_exp_f32_e32 v129, v129                                   // 000000023A30: 7F024181
	v_exp_f32_e32 v130, v130                                   // 000000023A34: 7F044182
	v_exp_f32_e32 v131, v131                                   // 000000023A38: 7F064183
	v_exp_f32_e32 v132, v132                                   // 000000023A3C: 7F084184
	v_exp_f32_e32 v133, v133                                   // 000000023A40: 7F0A4185
	v_exp_f32_e32 v134, v134                                   // 000000023A44: 7F0C4186
	v_exp_f32_e32 v135, v135                                   // 000000023A48: 7F0E4187
	v_exp_f32_e32 v136, v136                                   // 000000023A4C: 7F104188
	v_exp_f32_e32 v137, v137                                   // 000000023A50: 7F124189
	v_exp_f32_e32 v138, v138                                   // 000000023A54: 7F14418A
	v_exp_f32_e32 v139, v139                                   // 000000023A58: 7F16418B
	v_exp_f32_e32 v140, v140                                   // 000000023A5C: 7F18418C
	v_exp_f32_e32 v141, v141                                   // 000000023A60: 7F1A418D
	v_exp_f32_e32 v142, v142                                   // 000000023A64: 7F1C418E
	v_exp_f32_e32 v143, v143                                   // 000000023A68: 7F1E418F
	v_mul_f32_dpp v240, v252, v128 quad_perm:[0,0,0,0] row_mask:0xf bank_mask:0xf// 000000023A6C: 0BE100FA FF0000FC
	v_mul_f32_dpp v241, v252, v129 quad_perm:[1,1,1,1] row_mask:0xf bank_mask:0xf// 000000023A74: 0BE302FA FF0055FC
	v_mul_f32_dpp v242, v252, v130 quad_perm:[2,2,2,2] row_mask:0xf bank_mask:0xf// 000000023A7C: 0BE504FA FF00AAFC
	v_mul_f32_dpp v243, v252, v131 quad_perm:[3,3,3,3] row_mask:0xf bank_mask:0xf// 000000023A84: 0BE706FA FF00FFFC
	v_mul_f32_dpp v244, v253, v132 quad_perm:[0,0,0,0] row_mask:0xf bank_mask:0xf// 000000023A8C: 0BE908FA FF0000FD
	v_mul_f32_dpp v245, v253, v133 quad_perm:[1,1,1,1] row_mask:0xf bank_mask:0xf// 000000023A94: 0BEB0AFA FF0055FD
	v_mul_f32_dpp v246, v253, v134 quad_perm:[2,2,2,2] row_mask:0xf bank_mask:0xf// 000000023A9C: 0BED0CFA FF00AAFD
	v_mul_f32_dpp v247, v253, v135 quad_perm:[3,3,3,3] row_mask:0xf bank_mask:0xf// 000000023AA4: 0BEF0EFA FF00FFFD
	v_mul_f32_dpp v248, v254, v136 quad_perm:[0,0,0,0] row_mask:0xf bank_mask:0xf// 000000023AAC: 0BF110FA FF0000FE
	v_mul_f32_dpp v249, v254, v137 quad_perm:[1,1,1,1] row_mask:0xf bank_mask:0xf// 000000023AB4: 0BF312FA FF0055FE
	v_mul_f32_dpp v250, v254, v138 quad_perm:[2,2,2,2] row_mask:0xf bank_mask:0xf// 000000023ABC: 0BF514FA FF00AAFE
	v_mul_f32_dpp v251, v254, v139 quad_perm:[3,3,3,3] row_mask:0xf bank_mask:0xf// 000000023AC4: 0BF716FA FF00FFFE
	v_mul_f32_dpp v252, v255, v140 quad_perm:[0,0,0,0] row_mask:0xf bank_mask:0xf// 000000023ACC: 0BF918FA FF0000FF
	v_mul_f32_dpp v253, v255, v141 quad_perm:[1,1,1,1] row_mask:0xf bank_mask:0xf// 000000023AD4: 0BFB1AFA FF0055FF
	v_mul_f32_dpp v254, v255, v142 quad_perm:[2,2,2,2] row_mask:0xf bank_mask:0xf// 000000023ADC: 0BFD1CFA FF00AAFF
	v_mul_f32_dpp v255, v255, v143 quad_perm:[3,3,3,3] row_mask:0xf bank_mask:0xf// 000000023AE4: 0BFF1EFA FF00FFFF
	v_mov_b32_e32 v48, 0x358637bd                              // 000000023AEC: 7E6002FF 358637BD
	v_max3_f32 v48, |v240|, |v241|, v48                        // 000000023AF4: D1D30330 04C3E3F0
	v_max3_f32 v48, |v242|, |v243|, v48                        // 000000023AFC: D1D30330 04C3E7F2
	v_max3_f32 v48, |v244|, |v245|, v48                        // 000000023B04: D1D30330 04C3EBF4
	v_max3_f32 v48, |v246|, |v247|, v48                        // 000000023B0C: D1D30330 04C3EFF6
	v_max3_f32 v48, |v248|, |v249|, v48                        // 000000023B14: D1D30330 04C3F3F8
	v_max3_f32 v48, |v250|, |v251|, v48                        // 000000023B1C: D1D30330 04C3F7FA
	v_max3_f32 v48, |v252|, |v253|, v48                        // 000000023B24: D1D30330 04C3FBFC
	v_max3_f32 v48, |v254|, |v255|, v48                        // 000000023B2C: D1D30330 04C3FFFE
	ds_write_b32 v8, v48 offset:20992                          // 000000023B34: D81A5200 00003008
	v_sub_f32_e32 v50, v12, v15                                // 000000023B3C: 04641F0C
	v_cndmask_b32_e64 v50, v50, 0, s[40:41]                    // 000000023B40: D1000032 00A10132
	v_mov_b32_e32 v12, v15                                     // 000000023B48: 7E18030F
	v_mul_f32_e32 v50, s64, v50                                // 000000023B4C: 0A646440
	v_exp_f32_e32 v50, v50                                     // 000000023B50: 7E644132
	s_waitcnt lgkmcnt(0)                                       // 000000023B54: BF8CC07F
	s_barrier                                                  // 000000023B58: BF8A0000
	ds_read_b32 v64, v7 offset:20992                           // 000000023B5C: D86C5200 40000007
	ds_read_b32 v65, v7 offset:21056                           // 000000023B64: D86C5240 41000007
	ds_read_b32 v66, v7 offset:21120                           // 000000023B6C: D86C5280 42000007
	ds_read_b32 v67, v7 offset:21184                           // 000000023B74: D86C52C0 43000007
	ds_read_b32 v68, v7 offset:21248                           // 000000023B7C: D86C5300 44000007
	ds_read_b32 v69, v7 offset:21312                           // 000000023B84: D86C5340 45000007
	ds_read_b32 v70, v7 offset:21376                           // 000000023B8C: D86C5380 46000007
	ds_read_b32 v71, v7 offset:21440                           // 000000023B94: D86C53C0 47000007
	ds_read_b32 v72, v7 offset:21504                           // 000000023B9C: D86C5400 48000007
	ds_read_b32 v73, v7 offset:21568                           // 000000023BA4: D86C5440 49000007
	ds_read_b32 v74, v7 offset:21632                           // 000000023BAC: D86C5480 4A000007
	ds_read_b32 v75, v7 offset:21696                           // 000000023BB4: D86C54C0 4B000007
	ds_read_b32 v76, v7 offset:21760                           // 000000023BBC: D86C5500 4C000007
	ds_read_b32 v77, v7 offset:21824                           // 000000023BC4: D86C5540 4D000007
	ds_read_b32 v78, v7 offset:21888                           // 000000023BCC: D86C5580 4E000007
	ds_read_b32 v79, v7 offset:21952                           // 000000023BD4: D86C55C0 4F000007
	v_mul_f32_e32 v39, v50, v39                                // 000000023BDC: 0A4E4F32
	v_mov_b32_e32 v15, v128                                    // 000000023BE0: 7E1E0380
	v_add_f32_e32 v15, v129, v15                               // 000000023BE4: 021E1F81
	v_add_f32_e32 v15, v130, v15                               // 000000023BE8: 021E1F82
	v_add_f32_e32 v15, v131, v15                               // 000000023BEC: 021E1F83
	v_add_f32_e32 v15, v132, v15                               // 000000023BF0: 021E1F84
	v_add_f32_e32 v15, v133, v15                               // 000000023BF4: 021E1F85
	v_add_f32_e32 v15, v134, v15                               // 000000023BF8: 021E1F86
	v_add_f32_e32 v15, v135, v15                               // 000000023BFC: 021E1F87
	v_add_f32_e32 v15, v136, v15                               // 000000023C00: 021E1F88
	v_add_f32_e32 v15, v137, v15                               // 000000023C04: 021E1F89
	v_add_f32_e32 v15, v138, v15                               // 000000023C08: 021E1F8A
	v_add_f32_e32 v15, v139, v15                               // 000000023C0C: 021E1F8B
	v_add_f32_e32 v15, v140, v15                               // 000000023C10: 021E1F8C
	v_add_f32_e32 v15, v141, v15                               // 000000023C14: 021E1F8D
	v_add_f32_e32 v15, v142, v15                               // 000000023C18: 021E1F8E
	v_add_f32_e32 v15, v143, v15                               // 000000023C1C: 021E1F8F
	v_add_f32_e32 v39, v15, v39                                // 000000023C20: 024E4F0F
	s_waitcnt lgkmcnt(0)                                       // 000000023C24: BF8CC07F
	v_max3_f32 v48, |v64|, |v65|, v48                          // 000000023C28: D1D30330 04C28340
	v_max3_f32 v48, |v66|, |v67|, v48                          // 000000023C30: D1D30330 04C28742
	v_max3_f32 v48, |v68|, |v69|, v48                          // 000000023C38: D1D30330 04C28B44
	v_max3_f32 v48, |v70|, |v71|, v48                          // 000000023C40: D1D30330 04C28F46
	v_max3_f32 v48, |v72|, |v73|, v48                          // 000000023C48: D1D30330 04C29348
	v_max3_f32 v48, |v74|, |v75|, v48                          // 000000023C50: D1D30330 04C2974A
	v_max3_f32 v48, |v76|, |v77|, v48                          // 000000023C58: D1D30330 04C29B4C
	v_max3_f32 v48, |v78|, |v79|, v48                          // 000000023C60: D1D30330 04C29F4E
	s_nop 2                                                    // 000000023C68: BF800002
	v_rcp_f32_e32 v48, v48                                     // 000000023C6C: 7E604530
	s_nop 1                                                    // 000000023C70: BF800001
	v_mul_f32_e32 v48, 0x42fe0000, v48                         // 000000023C74: 0A6060FF 42FE0000
	v_mul_f32_e32 v128, v48, v240                              // 000000023C7C: 0B01E130
	v_mul_f32_e32 v129, v48, v241                              // 000000023C80: 0B03E330
	v_mul_f32_e32 v130, v48, v242                              // 000000023C84: 0B05E530
	v_mul_f32_e32 v131, v48, v243                              // 000000023C88: 0B07E730
	v_mul_f32_e32 v132, v48, v244                              // 000000023C8C: 0B09E930
	v_mul_f32_e32 v133, v48, v245                              // 000000023C90: 0B0BEB30
	v_mul_f32_e32 v134, v48, v246                              // 000000023C94: 0B0DED30
	v_mul_f32_e32 v135, v48, v247                              // 000000023C98: 0B0FEF30
	v_mul_f32_e32 v136, v48, v248                              // 000000023C9C: 0B11F130
	v_mul_f32_e32 v137, v48, v249                              // 000000023CA0: 0B13F330
	v_mul_f32_e32 v138, v48, v250                              // 000000023CA4: 0B15F530
	v_mul_f32_e32 v139, v48, v251                              // 000000023CA8: 0B17F730
	v_mul_f32_e32 v140, v48, v252                              // 000000023CAC: 0B19F930
	v_mul_f32_e32 v141, v48, v253                              // 000000023CB0: 0B1BFB30
	v_mul_f32_e32 v142, v48, v254                              // 000000023CB4: 0B1DFD30
	v_mul_f32_e32 v143, v48, v255                              // 000000023CB8: 0B1FFF30
	v_cvt_i32_f32_e32 v128, v128                               // 000000023CBC: 7F001180
	v_cvt_i32_f32_e32 v129, v129                               // 000000023CC0: 7F021181
	v_cvt_i32_f32_e32 v130, v130                               // 000000023CC4: 7F041182
	v_cvt_i32_f32_e32 v131, v131                               // 000000023CC8: 7F061183
	v_cvt_i32_f32_e32 v132, v132                               // 000000023CCC: 7F081184
	v_cvt_i32_f32_e32 v133, v133                               // 000000023CD0: 7F0A1185
	v_cvt_i32_f32_e32 v134, v134                               // 000000023CD4: 7F0C1186
	v_cvt_i32_f32_e32 v135, v135                               // 000000023CD8: 7F0E1187
	v_cvt_i32_f32_e32 v136, v136                               // 000000023CDC: 7F101188
	v_cvt_i32_f32_e32 v137, v137                               // 000000023CE0: 7F121189
	v_cvt_i32_f32_e32 v138, v138                               // 000000023CE4: 7F14118A
	v_cvt_i32_f32_e32 v139, v139                               // 000000023CE8: 7F16118B
	v_cvt_i32_f32_e32 v140, v140                               // 000000023CEC: 7F18118C
	v_cvt_i32_f32_e32 v141, v141                               // 000000023CF0: 7F1A118D
	v_cvt_i32_f32_e32 v142, v142                               // 000000023CF4: 7F1C118E
	v_cvt_i32_f32_e32 v143, v143                               // 000000023CF8: 7F1E118F
	v_perm_b32 v128, v129, v128, s53                           // 000000023CFC: D1ED0080 00D70181
	v_perm_b32 v128, v130, v128, s54                           // 000000023D04: D1ED0080 00DB0182
	v_perm_b32 v128, v131, v128, s55                           // 000000023D0C: D1ED0080 00DF0183
	v_perm_b32 v129, v133, v132, s53                           // 000000023D14: D1ED0081 00D70985
	v_perm_b32 v129, v134, v129, s54                           // 000000023D1C: D1ED0081 00DB0386
	v_perm_b32 v129, v135, v129, s55                           // 000000023D24: D1ED0081 00DF0387
	v_perm_b32 v130, v137, v136, s53                           // 000000023D2C: D1ED0082 00D71189
	v_perm_b32 v130, v138, v130, s54                           // 000000023D34: D1ED0082 00DB058A
	v_perm_b32 v130, v139, v130, s55                           // 000000023D3C: D1ED0082 00DF058B
	v_perm_b32 v131, v141, v140, s53                           // 000000023D44: D1ED0083 00D7198D
	v_perm_b32 v131, v142, v131, s54                           // 000000023D4C: D1ED0083 00DB078E
	v_perm_b32 v131, v143, v131, s55                           // 000000023D54: D1ED0083 00DF078F
	ds_write_b32 v10, v128 offset:29184                        // 000000023D5C: D81A7200 0000800A
	ds_write_b32 v10, v129 offset:30208                        // 000000023D64: D81A7600 0000810A
	ds_write_b32 v10, v130 offset:31232                        // 000000023D6C: D81A7A00 0000820A
	ds_write_b32 v10, v131 offset:32256                        // 000000023D74: D81A7E00 0000830A
	v_add_f32_e32 v216, v216, v184                             // 000000023D7C: 03B171D8
	v_add_f32_e32 v217, v217, v185                             // 000000023D80: 03B373D9
	v_add_f32_e32 v218, v218, v186                             // 000000023D84: 03B575DA
	v_add_f32_e32 v219, v219, v187                             // 000000023D88: 03B777DB
	v_add_f32_e32 v220, v220, v188                             // 000000023D8C: 03B979DC
	v_add_f32_e32 v221, v221, v189                             // 000000023D90: 03BB7BDD
	v_add_f32_e32 v222, v222, v190                             // 000000023D94: 03BD7DDE
	v_add_f32_e32 v223, v223, v191                             // 000000023D98: 03BF7FDF
	v_rcp_f32_e32 v45, v48                                     // 000000023D9C: 7E5A4530
	s_waitcnt lgkmcnt(0)                                       // 000000023DA0: BF8CC07F
	s_barrier                                                  // 000000023DA4: BF8A0000
	ds_read_b64 v[128:129], v9 offset:29184                    // 000000023DA8: D8EC7200 80000009
	ds_read_b64 v[130:131], v9 offset:29312                    // 000000023DB0: D8EC7280 82000009
	ds_read_b64 v[132:133], v9 offset:30208                    // 000000023DB8: D8EC7600 84000009
	ds_read_b64 v[134:135], v9 offset:30336                    // 000000023DC0: D8EC7680 86000009
	ds_read_b64 v[136:137], v9 offset:31232                    // 000000023DC8: D8EC7A00 88000009
	ds_read_b64 v[138:139], v9 offset:31360                    // 000000023DD0: D8EC7A80 8A000009
	ds_read_b64 v[140:141], v9 offset:32256                    // 000000023DD8: D8EC7E00 8C000009
	ds_read_b64 v[142:143], v9 offset:32384                    // 000000023DE0: D8EC7E80 8E000009
	v_mov_b32_dpp v64, v43 row_shr:4 row_mask:0xf bank_mask:0xf// 000000023DE8: 7E8002FA FF01142B
	v_mov_b32_dpp v65, v43 row_shl:4 row_mask:0xf bank_mask:0xf// 000000023DF0: 7E8202FA FF01042B
	v_cndmask_b32_e64 v248, v43, v64, s[44:45]                 // 000000023DF8: D10000F8 00B2812B
	v_cndmask_b32_e64 v249, v65, v43, s[44:45]                 // 000000023E00: D10000F9 00B25741
	v_mov_b32_dpp v64, v248 row_shr:8 row_mask:0xf bank_mask:0xf// 000000023E08: 7E8002FA FF0118F8
	v_mov_b32_dpp v65, v248 row_shl:8 row_mask:0xf bank_mask:0xf// 000000023E10: 7E8202FA FF0108F8
	v_mov_b32_dpp v66, v249 row_shr:8 row_mask:0xf bank_mask:0xf// 000000023E18: 7E8402FA FF0118F9
	v_mov_b32_dpp v67, v249 row_shl:8 row_mask:0xf bank_mask:0xf// 000000023E20: 7E8602FA FF0108F9
	v_mov_b32_e32 v68, v248                                    // 000000023E28: 7E8803F8
	v_mov_b32_e32 v69, v249                                    // 000000023E2C: 7E8A03F9
	v_cndmask_b32_e64 v248, v68, v64, s[42:43]                 // 000000023E30: D10000F8 00AA8144
	v_cndmask_b32_e64 v250, v68, v65, s[78:79]                 // 000000023E38: D10000FA 013A8344
	v_cndmask_b32_e64 v249, v69, v66, s[42:43]                 // 000000023E40: D10000F9 00AA8545
	v_cndmask_b32_e64 v251, v69, v67, s[78:79]                 // 000000023E48: D10000FB 013A8745
	v_mov_b32_dpp v64, v58 row_shr:4 row_mask:0xf bank_mask:0xf// 000000023E50: 7E8002FA FF01143A
	v_mov_b32_dpp v65, v58 row_shl:4 row_mask:0xf bank_mask:0xf// 000000023E58: 7E8202FA FF01043A
	v_cndmask_b32_e64 v252, v58, v64, s[44:45]                 // 000000023E60: D10000FC 00B2813A
	v_cndmask_b32_e64 v253, v65, v58, s[44:45]                 // 000000023E68: D10000FD 00B27541
	v_mov_b32_dpp v64, v252 row_shr:8 row_mask:0xf bank_mask:0xf// 000000023E70: 7E8002FA FF0118FC
	v_mov_b32_dpp v65, v252 row_shl:8 row_mask:0xf bank_mask:0xf// 000000023E78: 7E8202FA FF0108FC
	v_mov_b32_dpp v66, v253 row_shr:8 row_mask:0xf bank_mask:0xf// 000000023E80: 7E8402FA FF0118FD
	v_mov_b32_dpp v67, v253 row_shl:8 row_mask:0xf bank_mask:0xf// 000000023E88: 7E8602FA FF0108FD
	v_mov_b32_e32 v68, v252                                    // 000000023E90: 7E8803FC
	v_mov_b32_e32 v69, v253                                    // 000000023E94: 7E8A03FD
	v_cndmask_b32_e64 v252, v68, v64, s[42:43]                 // 000000023E98: D10000FC 00AA8144
	v_cndmask_b32_e64 v254, v68, v65, s[78:79]                 // 000000023EA0: D10000FE 013A8344
	v_cndmask_b32_e64 v253, v69, v66, s[42:43]                 // 000000023EA8: D10000FD 00AA8545
	v_cndmask_b32_e64 v255, v69, v67, s[78:79]                 // 000000023EB0: D10000FF 013A8745
	v_cvt_f32_i32_e32 v144, v144                               // 000000023EB8: 7F200B90
	v_cvt_f32_i32_e32 v145, v145                               // 000000023EBC: 7F220B91
	v_cvt_f32_i32_e32 v146, v146                               // 000000023EC0: 7F240B92
	v_cvt_f32_i32_e32 v147, v147                               // 000000023EC4: 7F260B93
	v_cvt_f32_i32_e32 v148, v148                               // 000000023EC8: 7F280B94
	v_cvt_f32_i32_e32 v149, v149                               // 000000023ECC: 7F2A0B95
	v_cvt_f32_i32_e32 v150, v150                               // 000000023ED0: 7F2C0B96
	v_cvt_f32_i32_e32 v151, v151                               // 000000023ED4: 7F2E0B97
	v_cvt_f32_i32_e32 v152, v152                               // 000000023ED8: 7F300B98
	v_cvt_f32_i32_e32 v153, v153                               // 000000023EDC: 7F320B99
	v_cvt_f32_i32_e32 v154, v154                               // 000000023EE0: 7F340B9A
	v_cvt_f32_i32_e32 v155, v155                               // 000000023EE4: 7F360B9B
	v_cvt_f32_i32_e32 v156, v156                               // 000000023EE8: 7F380B9C
	v_cvt_f32_i32_e32 v157, v157                               // 000000023EEC: 7F3A0B9D
	v_cvt_f32_i32_e32 v158, v158                               // 000000023EF0: 7F3C0B9E
	v_cvt_f32_i32_e32 v159, v159                               // 000000023EF4: 7F3E0B9F
	v_mul_f32_e32 v144, v20, v144                              // 000000023EF8: 0B212114
	v_mul_f32_e32 v145, v20, v145                              // 000000023EFC: 0B232314
	v_mul_f32_e32 v146, v20, v146                              // 000000023F00: 0B252514
	v_mul_f32_e32 v147, v20, v147                              // 000000023F04: 0B272714
	v_mul_f32_e32 v148, v20, v148                              // 000000023F08: 0B292914
	v_mul_f32_e32 v149, v20, v149                              // 000000023F0C: 0B2B2B14
	v_mul_f32_e32 v150, v20, v150                              // 000000023F10: 0B2D2D14
	v_mul_f32_e32 v151, v20, v151                              // 000000023F14: 0B2F2F14
	v_mul_f32_e32 v152, v20, v152                              // 000000023F18: 0B313114
	v_mul_f32_e32 v153, v20, v153                              // 000000023F1C: 0B333314
	v_mul_f32_e32 v154, v20, v154                              // 000000023F20: 0B353514
	v_mul_f32_e32 v155, v20, v155                              // 000000023F24: 0B373714
	v_mul_f32_e32 v156, v20, v156                              // 000000023F28: 0B393914
	v_mul_f32_e32 v157, v20, v157                              // 000000023F2C: 0B3B3B14
	v_mul_f32_e32 v158, v20, v158                              // 000000023F30: 0B3D3D14
	v_mul_f32_e32 v159, v20, v159                              // 000000023F34: 0B3F3F14
	v_mul_f32_dpp v144, v248, v144 quad_perm:[0,0,0,0] row_mask:0xf bank_mask:0xf// 000000023F38: 0B2120FA FF0000F8
	v_mul_f32_dpp v145, v248, v145 quad_perm:[1,1,1,1] row_mask:0xf bank_mask:0xf// 000000023F40: 0B2322FA FF0055F8
	v_mul_f32_dpp v146, v248, v146 quad_perm:[2,2,2,2] row_mask:0xf bank_mask:0xf// 000000023F48: 0B2524FA FF00AAF8
	v_mul_f32_dpp v147, v248, v147 quad_perm:[3,3,3,3] row_mask:0xf bank_mask:0xf// 000000023F50: 0B2726FA FF00FFF8
	v_mul_f32_dpp v148, v249, v148 quad_perm:[0,0,0,0] row_mask:0xf bank_mask:0xf// 000000023F58: 0B2928FA FF0000F9
	v_mul_f32_dpp v149, v249, v149 quad_perm:[1,1,1,1] row_mask:0xf bank_mask:0xf// 000000023F60: 0B2B2AFA FF0055F9
	v_mul_f32_dpp v150, v249, v150 quad_perm:[2,2,2,2] row_mask:0xf bank_mask:0xf// 000000023F68: 0B2D2CFA FF00AAF9
	v_mul_f32_dpp v151, v249, v151 quad_perm:[3,3,3,3] row_mask:0xf bank_mask:0xf// 000000023F70: 0B2F2EFA FF00FFF9
	v_mul_f32_dpp v152, v250, v152 quad_perm:[0,0,0,0] row_mask:0xf bank_mask:0xf// 000000023F78: 0B3130FA FF0000FA
	v_mul_f32_dpp v153, v250, v153 quad_perm:[1,1,1,1] row_mask:0xf bank_mask:0xf// 000000023F80: 0B3332FA FF0055FA
	v_mul_f32_dpp v154, v250, v154 quad_perm:[2,2,2,2] row_mask:0xf bank_mask:0xf// 000000023F88: 0B3534FA FF00AAFA
	v_mul_f32_dpp v155, v250, v155 quad_perm:[3,3,3,3] row_mask:0xf bank_mask:0xf// 000000023F90: 0B3736FA FF00FFFA
	v_mul_f32_dpp v156, v251, v156 quad_perm:[0,0,0,0] row_mask:0xf bank_mask:0xf// 000000023F98: 0B3938FA FF0000FB
	v_mul_f32_dpp v157, v251, v157 quad_perm:[1,1,1,1] row_mask:0xf bank_mask:0xf// 000000023FA0: 0B3B3AFA FF0055FB
	v_mul_f32_dpp v158, v251, v158 quad_perm:[2,2,2,2] row_mask:0xf bank_mask:0xf// 000000023FA8: 0B3D3CFA FF00AAFB
	v_mul_f32_dpp v159, v251, v159 quad_perm:[3,3,3,3] row_mask:0xf bank_mask:0xf// 000000023FB0: 0B3F3EFA FF00FFFB
	s_cmp_le_i32 s90, s89                                      // 000000023FB8: BF05595A
	s_cbranch_scc1 label_87E1                                  // 000000023FBC: BF850071
	v_mov_b32_e32 v66, 0xff800000                              // 000000023FC0: 7E8402FF FF800000
	s_mov_b32 s60, s90                                         // 000000023FC8: BEBC005A
	s_add_u32 s61, s89, 0xff                                   // 000000023FCC: 803DFF59 000000FF
	v_mov_b32_e32 v64, s61                                     // 000000023FD4: 7E80023D
	v_lshrrev_b32_e32 v240, 4, v0                              // 000000023FD8: 21E00084
	v_mul_i32_i24_e32 v240, 4, v240                            // 000000023FDC: 0DE1E084
	v_add_u32_e32 v240, s60, v240                              // 000000023FE0: 69E1E03C
	s_mov_b32 s61, 2                                           // 000000023FE4: BEBD0082
	s_mul_i32 s60, 16, s7                                      // 000000023FE8: 923C0790
	v_sub_u32_e64 v240, v240, s61                              // 000000023FEC: D13500F0 00007BF0
	v_add_u32_e32 v240, s60, v240                              // 000000023FF4: 69E1E03C
	v_add_u32_e32 v241, 1, v240                                // 000000023FF8: 69E3E081
	v_add_u32_e32 v242, 2, v240                                // 000000023FFC: 69E5E082
	v_add_u32_e32 v243, 3, v240                                // 000000024000: 69E7E083
	v_cmp_le_u32_e64 s[40:41], v240, v64                       // 000000024004: D0CB0028 000281F0
	v_add_u32_e32 v240, 64, v240                               // 00000002400C: 69E1E0C0
	s_nop 0                                                    // 000000024010: BF800000
	v_cndmask_b32_e64 v144, v66, v144, s[40:41]                // 000000024014: D1000090 00A32142
	v_cmp_le_u32_e64 s[40:41], v241, v64                       // 00000002401C: D0CB0028 000281F1
	v_add_u32_e32 v241, 64, v241                               // 000000024024: 69E3E2C0
	s_nop 0                                                    // 000000024028: BF800000
	v_cndmask_b32_e64 v145, v66, v145, s[40:41]                // 00000002402C: D1000091 00A32342
	v_cmp_le_u32_e64 s[40:41], v242, v64                       // 000000024034: D0CB0028 000281F2
	v_add_u32_e32 v242, 64, v242                               // 00000002403C: 69E5E4C0
	s_nop 0                                                    // 000000024040: BF800000
	v_cndmask_b32_e64 v146, v66, v146, s[40:41]                // 000000024044: D1000092 00A32542
	v_cmp_le_u32_e64 s[40:41], v243, v64                       // 00000002404C: D0CB0028 000281F3
	v_add_u32_e32 v243, 64, v243                               // 000000024054: 69E7E6C0
	s_nop 0                                                    // 000000024058: BF800000
	v_cndmask_b32_e64 v147, v66, v147, s[40:41]                // 00000002405C: D1000093 00A32742
	v_cmp_le_u32_e64 s[40:41], v240, v64                       // 000000024064: D0CB0028 000281F0
	v_add_u32_e32 v240, 64, v240                               // 00000002406C: 69E1E0C0
	s_nop 0                                                    // 000000024070: BF800000
	v_cndmask_b32_e64 v148, v66, v148, s[40:41]                // 000000024074: D1000094 00A32942
	v_cmp_le_u32_e64 s[40:41], v241, v64                       // 00000002407C: D0CB0028 000281F1
	v_add_u32_e32 v241, 64, v241                               // 000000024084: 69E3E2C0
	s_nop 0                                                    // 000000024088: BF800000
	v_cndmask_b32_e64 v149, v66, v149, s[40:41]                // 00000002408C: D1000095 00A32B42
	v_cmp_le_u32_e64 s[40:41], v242, v64                       // 000000024094: D0CB0028 000281F2
	v_add_u32_e32 v242, 64, v242                               // 00000002409C: 69E5E4C0
	s_nop 0                                                    // 0000000240A0: BF800000
	v_cndmask_b32_e64 v150, v66, v150, s[40:41]                // 0000000240A4: D1000096 00A32D42
	v_cmp_le_u32_e64 s[40:41], v243, v64                       // 0000000240AC: D0CB0028 000281F3
	v_add_u32_e32 v243, 64, v243                               // 0000000240B4: 69E7E6C0
	s_nop 0                                                    // 0000000240B8: BF800000
	v_cndmask_b32_e64 v151, v66, v151, s[40:41]                // 0000000240BC: D1000097 00A32F42
	v_cmp_le_u32_e64 s[40:41], v240, v64                       // 0000000240C4: D0CB0028 000281F0
	v_add_u32_e32 v240, 64, v240                               // 0000000240CC: 69E1E0C0
	s_nop 0                                                    // 0000000240D0: BF800000
	v_cndmask_b32_e64 v152, v66, v152, s[40:41]                // 0000000240D4: D1000098 00A33142
	v_cmp_le_u32_e64 s[40:41], v241, v64                       // 0000000240DC: D0CB0028 000281F1
	v_add_u32_e32 v241, 64, v241                               // 0000000240E4: 69E3E2C0
	s_nop 0                                                    // 0000000240E8: BF800000
	v_cndmask_b32_e64 v153, v66, v153, s[40:41]                // 0000000240EC: D1000099 00A33342
	v_cmp_le_u32_e64 s[40:41], v242, v64                       // 0000000240F4: D0CB0028 000281F2
	v_add_u32_e32 v242, 64, v242                               // 0000000240FC: 69E5E4C0
	s_nop 0                                                    // 000000024100: BF800000
	v_cndmask_b32_e64 v154, v66, v154, s[40:41]                // 000000024104: D100009A 00A33542
	v_cmp_le_u32_e64 s[40:41], v243, v64                       // 00000002410C: D0CB0028 000281F3
	v_add_u32_e32 v243, 64, v243                               // 000000024114: 69E7E6C0
	s_nop 0                                                    // 000000024118: BF800000
	v_cndmask_b32_e64 v155, v66, v155, s[40:41]                // 00000002411C: D100009B 00A33742
	v_cmp_le_u32_e64 s[40:41], v240, v64                       // 000000024124: D0CB0028 000281F0
	v_add_u32_e32 v240, 64, v240                               // 00000002412C: 69E1E0C0
	s_nop 0                                                    // 000000024130: BF800000
	v_cndmask_b32_e64 v156, v66, v156, s[40:41]                // 000000024134: D100009C 00A33942
	v_cmp_le_u32_e64 s[40:41], v241, v64                       // 00000002413C: D0CB0028 000281F1
	v_add_u32_e32 v241, 64, v241                               // 000000024144: 69E3E2C0
	s_nop 0                                                    // 000000024148: BF800000
	v_cndmask_b32_e64 v157, v66, v157, s[40:41]                // 00000002414C: D100009D 00A33B42
	v_cmp_le_u32_e64 s[40:41], v242, v64                       // 000000024154: D0CB0028 000281F2
	v_add_u32_e32 v242, 64, v242                               // 00000002415C: 69E5E4C0
	s_nop 0                                                    // 000000024160: BF800000
	v_cndmask_b32_e64 v158, v66, v158, s[40:41]                // 000000024164: D100009E 00A33D42
	v_cmp_le_u32_e64 s[40:41], v243, v64                       // 00000002416C: D0CB0028 000281F3
	v_add_u32_e32 v243, 64, v243                               // 000000024174: 69E7E6C0
	s_nop 0                                                    // 000000024178: BF800000
	v_cndmask_b32_e64 v159, v66, v159, s[40:41]                // 00000002417C: D100009F 00A33F42

0000000000024184 <label_87E1>:
	v_mov_b32_e32 v48, v144                                    // 000000024184: 7E600390
	v_max3_f32 v48, v144, v145, v48                            // 000000024188: D1D30030 04C32390
	v_max3_f32 v48, v146, v147, v48                            // 000000024190: D1D30030 04C32792
	v_max3_f32 v48, v148, v149, v48                            // 000000024198: D1D30030 04C32B94
	v_max3_f32 v48, v150, v151, v48                            // 0000000241A0: D1D30030 04C32F96
	v_max3_f32 v48, v152, v153, v48                            // 0000000241A8: D1D30030 04C33398
	v_max3_f32 v48, v154, v155, v48                            // 0000000241B0: D1D30030 04C3379A
	v_max3_f32 v48, v156, v157, v48                            // 0000000241B8: D1D30030 04C33B9C
	v_max3_f32 v48, v158, v159, v48                            // 0000000241C0: D1D30030 04C33F9E
	ds_write_b32 v8, v48 offset:16896                          // 0000000241C8: D81A4200 00003008
	v_mul_f32_e32 v224, v51, v224                              // 0000000241D0: 0BC1C133
	v_mul_f32_e32 v225, v51, v225                              // 0000000241D4: 0BC3C333
	v_mul_f32_e32 v226, v51, v226                              // 0000000241D8: 0BC5C533
	v_mul_f32_e32 v227, v51, v227                              // 0000000241DC: 0BC7C733
	v_mul_f32_e32 v228, v51, v228                              // 0000000241E0: 0BC9C933
	v_mul_f32_e32 v229, v51, v229                              // 0000000241E4: 0BCBCB33
	v_mul_f32_e32 v230, v51, v230                              // 0000000241E8: 0BCDCD33
	v_mul_f32_e32 v231, v51, v231                              // 0000000241EC: 0BCFCF33
	s_waitcnt lgkmcnt(0)                                       // 0000000241F0: BF8CC07F
	s_barrier                                                  // 0000000241F4: BF8A0000
	ds_read_b32 v64, v7 offset:16896                           // 0000000241F8: D86C4200 40000007
	ds_read_b32 v65, v7 offset:16960                           // 000000024200: D86C4240 41000007
	ds_read_b32 v66, v7 offset:17024                           // 000000024208: D86C4280 42000007
	ds_read_b32 v67, v7 offset:17088                           // 000000024210: D86C42C0 43000007
	ds_read_b32 v68, v7 offset:17152                           // 000000024218: D86C4300 44000007
	ds_read_b32 v69, v7 offset:17216                           // 000000024220: D86C4340 45000007
	ds_read_b32 v70, v7 offset:17280                           // 000000024228: D86C4380 46000007
	ds_read_b32 v71, v7 offset:17344                           // 000000024230: D86C43C0 47000007
	ds_read_b32 v72, v7 offset:17408                           // 000000024238: D86C4400 48000007
	ds_read_b32 v73, v7 offset:17472                           // 000000024240: D86C4440 49000007
	ds_read_b32 v74, v7 offset:17536                           // 000000024248: D86C4480 4A000007
	ds_read_b32 v75, v7 offset:17600                           // 000000024250: D86C44C0 4B000007
	ds_read_b32 v76, v7 offset:17664                           // 000000024258: D86C4500 4C000007
	ds_read_b32 v77, v7 offset:17728                           // 000000024260: D86C4540 4D000007
	ds_read_b32 v78, v7 offset:17792                           // 000000024268: D86C4580 4E000007
	ds_read_b32 v79, v7 offset:17856                           // 000000024270: D86C45C0 4F000007
	v_cvt_f32_i32_e32 v192, v192                               // 000000024278: 7F800BC0
	v_cvt_f32_i32_e32 v193, v193                               // 00000002427C: 7F820BC1
	v_cvt_f32_i32_e32 v194, v194                               // 000000024280: 7F840BC2
	v_cvt_f32_i32_e32 v195, v195                               // 000000024284: 7F860BC3
	v_cvt_f32_i32_e32 v196, v196                               // 000000024288: 7F880BC4
	v_cvt_f32_i32_e32 v197, v197                               // 00000002428C: 7F8A0BC5
	v_cvt_f32_i32_e32 v198, v198                               // 000000024290: 7F8C0BC6
	v_cvt_f32_i32_e32 v199, v199                               // 000000024294: 7F8E0BC7
	v_mul_f32_e32 v192, v46, v192                              // 000000024298: 0B81812E
	v_mul_f32_e32 v193, v46, v193                              // 00000002429C: 0B83832E
	v_mul_f32_e32 v194, v46, v194                              // 0000000242A0: 0B85852E
	v_mul_f32_e32 v195, v46, v195                              // 0000000242A4: 0B87872E
	v_mul_f32_e32 v196, v46, v196                              // 0000000242A8: 0B89892E
	v_mul_f32_e32 v197, v46, v197                              // 0000000242AC: 0B8B8B2E
	v_mul_f32_e32 v198, v46, v198                              // 0000000242B0: 0B8D8D2E
	v_mul_f32_e32 v199, v46, v199                              // 0000000242B4: 0B8F8F2E
	s_waitcnt lgkmcnt(0)                                       // 0000000242B8: BF8CC07F
	v_max3_f32 v48, v64, v65, v48                              // 0000000242BC: D1D30030 04C28340
	v_max3_f32 v48, v66, v67, v48                              // 0000000242C4: D1D30030 04C28742
	v_max3_f32 v48, v68, v69, v48                              // 0000000242CC: D1D30030 04C28B44
	v_max3_f32 v48, v70, v71, v48                              // 0000000242D4: D1D30030 04C28F46
	v_max3_f32 v48, v72, v73, v48                              // 0000000242DC: D1D30030 04C29348
	v_max3_f32 v48, v74, v75, v48                              // 0000000242E4: D1D30030 04C2974A
	v_max3_f32 v48, v76, v77, v48                              // 0000000242EC: D1D30030 04C29B4C
	v_max3_f32 v48, v78, v79, v48                              // 0000000242F4: D1D30030 04C29F4E
	v_mov_b32_e32 v64, 0xff800000                              // 0000000242FC: 7E8002FF FF800000
	v_cmp_eq_u32_e64 s[40:41], v64, v13                        // 000000024304: D0CA0028 00021B40
	s_nop 1                                                    // 00000002430C: BF800001
	v_max_f32_e32 v15, v48, v13                                // 000000024310: 161E1B30
	v_mul_f32_e32 v53, s64, v15                                // 000000024314: 0A6A1E40
	v_fma_f32 v144, v144, s64, -v53                            // 000000024318: D1CB0090 84D48190
	v_fma_f32 v145, v145, s64, -v53                            // 000000024320: D1CB0091 84D48191
	v_fma_f32 v146, v146, s64, -v53                            // 000000024328: D1CB0092 84D48192
	v_fma_f32 v147, v147, s64, -v53                            // 000000024330: D1CB0093 84D48193
	v_fma_f32 v148, v148, s64, -v53                            // 000000024338: D1CB0094 84D48194
	v_fma_f32 v149, v149, s64, -v53                            // 000000024340: D1CB0095 84D48195
	v_fma_f32 v150, v150, s64, -v53                            // 000000024348: D1CB0096 84D48196
	v_fma_f32 v151, v151, s64, -v53                            // 000000024350: D1CB0097 84D48197
	v_fma_f32 v152, v152, s64, -v53                            // 000000024358: D1CB0098 84D48198
	v_fma_f32 v153, v153, s64, -v53                            // 000000024360: D1CB0099 84D48199
	v_fma_f32 v154, v154, s64, -v53                            // 000000024368: D1CB009A 84D4819A
	v_fma_f32 v155, v155, s64, -v53                            // 000000024370: D1CB009B 84D4819B
	v_fma_f32 v156, v156, s64, -v53                            // 000000024378: D1CB009C 84D4819C
	v_fma_f32 v157, v157, s64, -v53                            // 000000024380: D1CB009D 84D4819D
	v_fma_f32 v158, v158, s64, -v53                            // 000000024388: D1CB009E 84D4819E
	v_fma_f32 v159, v159, s64, -v53                            // 000000024390: D1CB009F 84D4819F
	v_exp_f32_e32 v144, v144                                   // 000000024398: 7F204190
	v_exp_f32_e32 v145, v145                                   // 00000002439C: 7F224191
	v_exp_f32_e32 v146, v146                                   // 0000000243A0: 7F244192
	v_exp_f32_e32 v147, v147                                   // 0000000243A4: 7F264193
	v_exp_f32_e32 v148, v148                                   // 0000000243A8: 7F284194
	v_exp_f32_e32 v149, v149                                   // 0000000243AC: 7F2A4195
	v_exp_f32_e32 v150, v150                                   // 0000000243B0: 7F2C4196
	v_exp_f32_e32 v151, v151                                   // 0000000243B4: 7F2E4197
	v_exp_f32_e32 v152, v152                                   // 0000000243B8: 7F304198
	v_exp_f32_e32 v153, v153                                   // 0000000243BC: 7F324199
	v_exp_f32_e32 v154, v154                                   // 0000000243C0: 7F34419A
	v_exp_f32_e32 v155, v155                                   // 0000000243C4: 7F36419B
	v_exp_f32_e32 v156, v156                                   // 0000000243C8: 7F38419C
	v_exp_f32_e32 v157, v157                                   // 0000000243CC: 7F3A419D
	v_exp_f32_e32 v158, v158                                   // 0000000243D0: 7F3C419E
	v_exp_f32_e32 v159, v159                                   // 0000000243D4: 7F3E419F
	v_mul_f32_dpp v240, v252, v144 quad_perm:[0,0,0,0] row_mask:0xf bank_mask:0xf// 0000000243D8: 0BE120FA FF0000FC
	v_mul_f32_dpp v241, v252, v145 quad_perm:[1,1,1,1] row_mask:0xf bank_mask:0xf// 0000000243E0: 0BE322FA FF0055FC
	v_mul_f32_dpp v242, v252, v146 quad_perm:[2,2,2,2] row_mask:0xf bank_mask:0xf// 0000000243E8: 0BE524FA FF00AAFC
	v_mul_f32_dpp v243, v252, v147 quad_perm:[3,3,3,3] row_mask:0xf bank_mask:0xf// 0000000243F0: 0BE726FA FF00FFFC
	v_mul_f32_dpp v244, v253, v148 quad_perm:[0,0,0,0] row_mask:0xf bank_mask:0xf// 0000000243F8: 0BE928FA FF0000FD
	v_mul_f32_dpp v245, v253, v149 quad_perm:[1,1,1,1] row_mask:0xf bank_mask:0xf// 000000024400: 0BEB2AFA FF0055FD
	v_mul_f32_dpp v246, v253, v150 quad_perm:[2,2,2,2] row_mask:0xf bank_mask:0xf// 000000024408: 0BED2CFA FF00AAFD
	v_mul_f32_dpp v247, v253, v151 quad_perm:[3,3,3,3] row_mask:0xf bank_mask:0xf// 000000024410: 0BEF2EFA FF00FFFD
	v_mul_f32_dpp v248, v254, v152 quad_perm:[0,0,0,0] row_mask:0xf bank_mask:0xf// 000000024418: 0BF130FA FF0000FE
	v_mul_f32_dpp v249, v254, v153 quad_perm:[1,1,1,1] row_mask:0xf bank_mask:0xf// 000000024420: 0BF332FA FF0055FE
	v_mul_f32_dpp v250, v254, v154 quad_perm:[2,2,2,2] row_mask:0xf bank_mask:0xf// 000000024428: 0BF534FA FF00AAFE
	v_mul_f32_dpp v251, v254, v155 quad_perm:[3,3,3,3] row_mask:0xf bank_mask:0xf// 000000024430: 0BF736FA FF00FFFE
	v_mul_f32_dpp v252, v255, v156 quad_perm:[0,0,0,0] row_mask:0xf bank_mask:0xf// 000000024438: 0BF938FA FF0000FF
	v_mul_f32_dpp v253, v255, v157 quad_perm:[1,1,1,1] row_mask:0xf bank_mask:0xf// 000000024440: 0BFB3AFA FF0055FF
	v_mul_f32_dpp v254, v255, v158 quad_perm:[2,2,2,2] row_mask:0xf bank_mask:0xf// 000000024448: 0BFD3CFA FF00AAFF
	v_mul_f32_dpp v255, v255, v159 quad_perm:[3,3,3,3] row_mask:0xf bank_mask:0xf// 000000024450: 0BFF3EFA FF00FFFF
	v_mov_b32_e32 v48, 0x358637bd                              // 000000024458: 7E6002FF 358637BD
	v_max3_f32 v48, |v240|, |v241|, v48                        // 000000024460: D1D30330 04C3E3F0
	v_max3_f32 v48, |v242|, |v243|, v48                        // 000000024468: D1D30330 04C3E7F2
	v_max3_f32 v48, |v244|, |v245|, v48                        // 000000024470: D1D30330 04C3EBF4
	v_max3_f32 v48, |v246|, |v247|, v48                        // 000000024478: D1D30330 04C3EFF6
	v_max3_f32 v48, |v248|, |v249|, v48                        // 000000024480: D1D30330 04C3F3F8
	v_max3_f32 v48, |v250|, |v251|, v48                        // 000000024488: D1D30330 04C3F7FA
	v_max3_f32 v48, |v252|, |v253|, v48                        // 000000024490: D1D30330 04C3FBFC
	v_max3_f32 v48, |v254|, |v255|, v48                        // 000000024498: D1D30330 04C3FFFE
	ds_write_b32 v8, v48 offset:20992                          // 0000000244A0: D81A5200 00003008
	v_sub_f32_e32 v51, v13, v15                                // 0000000244A8: 04661F0D
	v_cndmask_b32_e64 v51, v51, 0, s[40:41]                    // 0000000244AC: D1000033 00A10133
	v_mov_b32_e32 v13, v15                                     // 0000000244B4: 7E1A030F
	v_mul_f32_e32 v51, s64, v51                                // 0000000244B8: 0A666640
	v_exp_f32_e32 v51, v51                                     // 0000000244BC: 7E664133
	s_waitcnt lgkmcnt(0)                                       // 0000000244C0: BF8CC07F
	s_barrier                                                  // 0000000244C4: BF8A0000
	ds_read_b32 v64, v7 offset:20992                           // 0000000244C8: D86C5200 40000007
	ds_read_b32 v65, v7 offset:21056                           // 0000000244D0: D86C5240 41000007
	ds_read_b32 v66, v7 offset:21120                           // 0000000244D8: D86C5280 42000007
	ds_read_b32 v67, v7 offset:21184                           // 0000000244E0: D86C52C0 43000007
	ds_read_b32 v68, v7 offset:21248                           // 0000000244E8: D86C5300 44000007
	ds_read_b32 v69, v7 offset:21312                           // 0000000244F0: D86C5340 45000007
	ds_read_b32 v70, v7 offset:21376                           // 0000000244F8: D86C5380 46000007
	ds_read_b32 v71, v7 offset:21440                           // 000000024500: D86C53C0 47000007
	ds_read_b32 v72, v7 offset:21504                           // 000000024508: D86C5400 48000007
	ds_read_b32 v73, v7 offset:21568                           // 000000024510: D86C5440 49000007
	ds_read_b32 v74, v7 offset:21632                           // 000000024518: D86C5480 4A000007
	ds_read_b32 v75, v7 offset:21696                           // 000000024520: D86C54C0 4B000007
	ds_read_b32 v76, v7 offset:21760                           // 000000024528: D86C5500 4C000007
	ds_read_b32 v77, v7 offset:21824                           // 000000024530: D86C5540 4D000007
	ds_read_b32 v78, v7 offset:21888                           // 000000024538: D86C5580 4E000007
	ds_read_b32 v79, v7 offset:21952                           // 000000024540: D86C55C0 4F000007
	v_mul_f32_e32 v40, v51, v40                                // 000000024548: 0A505133
	v_mov_b32_e32 v15, v144                                    // 00000002454C: 7E1E0390
	v_add_f32_e32 v15, v145, v15                               // 000000024550: 021E1F91
	v_add_f32_e32 v15, v146, v15                               // 000000024554: 021E1F92
	v_add_f32_e32 v15, v147, v15                               // 000000024558: 021E1F93
	v_add_f32_e32 v15, v148, v15                               // 00000002455C: 021E1F94
	v_add_f32_e32 v15, v149, v15                               // 000000024560: 021E1F95
	v_add_f32_e32 v15, v150, v15                               // 000000024564: 021E1F96
	v_add_f32_e32 v15, v151, v15                               // 000000024568: 021E1F97
	v_add_f32_e32 v15, v152, v15                               // 00000002456C: 021E1F98
	v_add_f32_e32 v15, v153, v15                               // 000000024570: 021E1F99
	v_add_f32_e32 v15, v154, v15                               // 000000024574: 021E1F9A
	v_add_f32_e32 v15, v155, v15                               // 000000024578: 021E1F9B
	v_add_f32_e32 v15, v156, v15                               // 00000002457C: 021E1F9C
	v_add_f32_e32 v15, v157, v15                               // 000000024580: 021E1F9D
	v_add_f32_e32 v15, v158, v15                               // 000000024584: 021E1F9E
	v_add_f32_e32 v15, v159, v15                               // 000000024588: 021E1F9F
	v_add_f32_e32 v40, v15, v40                                // 00000002458C: 0250510F
	s_waitcnt lgkmcnt(0)                                       // 000000024590: BF8CC07F
	v_max3_f32 v48, |v64|, |v65|, v48                          // 000000024594: D1D30330 04C28340
	v_max3_f32 v48, |v66|, |v67|, v48                          // 00000002459C: D1D30330 04C28742
	v_max3_f32 v48, |v68|, |v69|, v48                          // 0000000245A4: D1D30330 04C28B44
	v_max3_f32 v48, |v70|, |v71|, v48                          // 0000000245AC: D1D30330 04C28F46
	v_max3_f32 v48, |v72|, |v73|, v48                          // 0000000245B4: D1D30330 04C29348
	v_max3_f32 v48, |v74|, |v75|, v48                          // 0000000245BC: D1D30330 04C2974A
	v_max3_f32 v48, |v76|, |v77|, v48                          // 0000000245C4: D1D30330 04C29B4C
	v_max3_f32 v48, |v78|, |v79|, v48                          // 0000000245CC: D1D30330 04C29F4E
	s_nop 2                                                    // 0000000245D4: BF800002
	v_rcp_f32_e32 v48, v48                                     // 0000000245D8: 7E604530
	s_nop 1                                                    // 0000000245DC: BF800001
	v_mul_f32_e32 v48, 0x42fe0000, v48                         // 0000000245E0: 0A6060FF 42FE0000
	v_mul_f32_e32 v144, v48, v240                              // 0000000245E8: 0B21E130
	v_mul_f32_e32 v145, v48, v241                              // 0000000245EC: 0B23E330
	v_mul_f32_e32 v146, v48, v242                              // 0000000245F0: 0B25E530
	v_mul_f32_e32 v147, v48, v243                              // 0000000245F4: 0B27E730
	v_mul_f32_e32 v148, v48, v244                              // 0000000245F8: 0B29E930
	v_mul_f32_e32 v149, v48, v245                              // 0000000245FC: 0B2BEB30
	v_mul_f32_e32 v150, v48, v246                              // 000000024600: 0B2DED30
	v_mul_f32_e32 v151, v48, v247                              // 000000024604: 0B2FEF30
	v_mul_f32_e32 v152, v48, v248                              // 000000024608: 0B31F130
	v_mul_f32_e32 v153, v48, v249                              // 00000002460C: 0B33F330
	v_mul_f32_e32 v154, v48, v250                              // 000000024610: 0B35F530
	v_mul_f32_e32 v155, v48, v251                              // 000000024614: 0B37F730
	v_mul_f32_e32 v156, v48, v252                              // 000000024618: 0B39F930
	v_mul_f32_e32 v157, v48, v253                              // 00000002461C: 0B3BFB30
	v_mul_f32_e32 v158, v48, v254                              // 000000024620: 0B3DFD30
	v_mul_f32_e32 v159, v48, v255                              // 000000024624: 0B3FFF30
	v_cvt_i32_f32_e32 v144, v144                               // 000000024628: 7F201190
	v_cvt_i32_f32_e32 v145, v145                               // 00000002462C: 7F221191
	v_cvt_i32_f32_e32 v146, v146                               // 000000024630: 7F241192
	v_cvt_i32_f32_e32 v147, v147                               // 000000024634: 7F261193
	v_cvt_i32_f32_e32 v148, v148                               // 000000024638: 7F281194
	v_cvt_i32_f32_e32 v149, v149                               // 00000002463C: 7F2A1195
	v_cvt_i32_f32_e32 v150, v150                               // 000000024640: 7F2C1196
	v_cvt_i32_f32_e32 v151, v151                               // 000000024644: 7F2E1197
	v_cvt_i32_f32_e32 v152, v152                               // 000000024648: 7F301198
	v_cvt_i32_f32_e32 v153, v153                               // 00000002464C: 7F321199
	v_cvt_i32_f32_e32 v154, v154                               // 000000024650: 7F34119A
	v_cvt_i32_f32_e32 v155, v155                               // 000000024654: 7F36119B
	v_cvt_i32_f32_e32 v156, v156                               // 000000024658: 7F38119C
	v_cvt_i32_f32_e32 v157, v157                               // 00000002465C: 7F3A119D
	v_cvt_i32_f32_e32 v158, v158                               // 000000024660: 7F3C119E
	v_cvt_i32_f32_e32 v159, v159                               // 000000024664: 7F3E119F
	v_perm_b32 v144, v145, v144, s53                           // 000000024668: D1ED0090 00D72191
	v_perm_b32 v144, v146, v144, s54                           // 000000024670: D1ED0090 00DB2192
	v_perm_b32 v144, v147, v144, s55                           // 000000024678: D1ED0090 00DF2193
	v_perm_b32 v145, v149, v148, s53                           // 000000024680: D1ED0091 00D72995
	v_perm_b32 v145, v150, v145, s54                           // 000000024688: D1ED0091 00DB2396
	v_perm_b32 v145, v151, v145, s55                           // 000000024690: D1ED0091 00DF2397
	v_perm_b32 v146, v153, v152, s53                           // 000000024698: D1ED0092 00D73199
	v_perm_b32 v146, v154, v146, s54                           // 0000000246A0: D1ED0092 00DB259A
	v_perm_b32 v146, v155, v146, s55                           // 0000000246A8: D1ED0092 00DF259B
	v_perm_b32 v147, v157, v156, s53                           // 0000000246B0: D1ED0093 00D7399D
	v_perm_b32 v147, v158, v147, s54                           // 0000000246B8: D1ED0093 00DB279E
	v_perm_b32 v147, v159, v147, s55                           // 0000000246C0: D1ED0093 00DF279F
	ds_write_b32 v10, v144 offset:33280                        // 0000000246C8: D81A8200 0000900A
	ds_write_b32 v10, v145 offset:34304                        // 0000000246D0: D81A8600 0000910A
	ds_write_b32 v10, v146 offset:35328                        // 0000000246D8: D81A8A00 0000920A
	ds_write_b32 v10, v147 offset:36352                        // 0000000246E0: D81A8E00 0000930A
	v_add_f32_e32 v224, v224, v192                             // 0000000246E8: 03C181E0
	v_add_f32_e32 v225, v225, v193                             // 0000000246EC: 03C383E1
	v_add_f32_e32 v226, v226, v194                             // 0000000246F0: 03C585E2
	v_add_f32_e32 v227, v227, v195                             // 0000000246F4: 03C787E3
	v_add_f32_e32 v228, v228, v196                             // 0000000246F8: 03C989E4
	v_add_f32_e32 v229, v229, v197                             // 0000000246FC: 03CB8BE5
	v_add_f32_e32 v230, v230, v198                             // 000000024700: 03CD8DE6
	v_add_f32_e32 v231, v231, v199                             // 000000024704: 03CF8FE7
	v_rcp_f32_e32 v46, v48                                     // 000000024708: 7E5C4530
	s_waitcnt lgkmcnt(0)                                       // 00000002470C: BF8CC07F
	s_barrier                                                  // 000000024710: BF8A0000
	ds_read_b64 v[144:145], v9 offset:33280                    // 000000024714: D8EC8200 90000009
	ds_read_b64 v[146:147], v9 offset:33408                    // 00000002471C: D8EC8280 92000009
	ds_read_b64 v[148:149], v9 offset:34304                    // 000000024724: D8EC8600 94000009
	ds_read_b64 v[150:151], v9 offset:34432                    // 00000002472C: D8EC8680 96000009
	ds_read_b64 v[152:153], v9 offset:35328                    // 000000024734: D8EC8A00 98000009
	ds_read_b64 v[154:155], v9 offset:35456                    // 00000002473C: D8EC8A80 9A000009
	ds_read_b64 v[156:157], v9 offset:36352                    // 000000024744: D8EC8E00 9C000009
	ds_read_b64 v[158:159], v9 offset:36480                    // 00000002474C: D8EC8E80 9E000009
	v_mov_b32_dpp v64, v43 row_shr:4 row_mask:0xf bank_mask:0xf// 000000024754: 7E8002FA FF01142B
	v_mov_b32_dpp v65, v43 row_shl:4 row_mask:0xf bank_mask:0xf// 00000002475C: 7E8202FA FF01042B
	v_cndmask_b32_e64 v248, v43, v64, s[44:45]                 // 000000024764: D10000F8 00B2812B
	v_cndmask_b32_e64 v249, v65, v43, s[44:45]                 // 00000002476C: D10000F9 00B25741
	v_mov_b32_dpp v64, v248 row_shr:8 row_mask:0xf bank_mask:0xf// 000000024774: 7E8002FA FF0118F8
	v_mov_b32_dpp v65, v248 row_shl:8 row_mask:0xf bank_mask:0xf// 00000002477C: 7E8202FA FF0108F8
	v_mov_b32_dpp v66, v249 row_shr:8 row_mask:0xf bank_mask:0xf// 000000024784: 7E8402FA FF0118F9
	v_mov_b32_dpp v67, v249 row_shl:8 row_mask:0xf bank_mask:0xf// 00000002478C: 7E8602FA FF0108F9
	v_mov_b32_e32 v68, v248                                    // 000000024794: 7E8803F8
	v_mov_b32_e32 v69, v249                                    // 000000024798: 7E8A03F9
	v_cndmask_b32_e64 v248, v68, v64, s[42:43]                 // 00000002479C: D10000F8 00AA8144
	v_cndmask_b32_e64 v250, v68, v65, s[78:79]                 // 0000000247A4: D10000FA 013A8344
	v_cndmask_b32_e64 v249, v69, v66, s[42:43]                 // 0000000247AC: D10000F9 00AA8545
	v_cndmask_b32_e64 v251, v69, v67, s[78:79]                 // 0000000247B4: D10000FB 013A8745
	v_mov_b32_dpp v64, v58 row_shr:4 row_mask:0xf bank_mask:0xf// 0000000247BC: 7E8002FA FF01143A
	v_mov_b32_dpp v65, v58 row_shl:4 row_mask:0xf bank_mask:0xf// 0000000247C4: 7E8202FA FF01043A
	v_cndmask_b32_e64 v252, v58, v64, s[44:45]                 // 0000000247CC: D10000FC 00B2813A
	v_cndmask_b32_e64 v253, v65, v58, s[44:45]                 // 0000000247D4: D10000FD 00B27541
	v_mov_b32_dpp v64, v252 row_shr:8 row_mask:0xf bank_mask:0xf// 0000000247DC: 7E8002FA FF0118FC
	v_mov_b32_dpp v65, v252 row_shl:8 row_mask:0xf bank_mask:0xf// 0000000247E4: 7E8202FA FF0108FC
	v_mov_b32_dpp v66, v253 row_shr:8 row_mask:0xf bank_mask:0xf// 0000000247EC: 7E8402FA FF0118FD
	v_mov_b32_dpp v67, v253 row_shl:8 row_mask:0xf bank_mask:0xf// 0000000247F4: 7E8602FA FF0108FD
	v_mov_b32_e32 v68, v252                                    // 0000000247FC: 7E8803FC
	v_mov_b32_e32 v69, v253                                    // 000000024800: 7E8A03FD
	v_cndmask_b32_e64 v252, v68, v64, s[42:43]                 // 000000024804: D10000FC 00AA8144
	v_cndmask_b32_e64 v254, v68, v65, s[78:79]                 // 00000002480C: D10000FE 013A8344
	v_cndmask_b32_e64 v253, v69, v66, s[42:43]                 // 000000024814: D10000FD 00AA8545
	v_cndmask_b32_e64 v255, v69, v67, s[78:79]                 // 00000002481C: D10000FF 013A8745
	v_cvt_f32_i32_e32 v160, v160                               // 000000024824: 7F400BA0
	v_cvt_f32_i32_e32 v161, v161                               // 000000024828: 7F420BA1
	v_cvt_f32_i32_e32 v162, v162                               // 00000002482C: 7F440BA2
	v_cvt_f32_i32_e32 v163, v163                               // 000000024830: 7F460BA3
	v_cvt_f32_i32_e32 v164, v164                               // 000000024834: 7F480BA4
	v_cvt_f32_i32_e32 v165, v165                               // 000000024838: 7F4A0BA5
	v_cvt_f32_i32_e32 v166, v166                               // 00000002483C: 7F4C0BA6
	v_cvt_f32_i32_e32 v167, v167                               // 000000024840: 7F4E0BA7
	v_cvt_f32_i32_e32 v168, v168                               // 000000024844: 7F500BA8
	v_cvt_f32_i32_e32 v169, v169                               // 000000024848: 7F520BA9
	v_cvt_f32_i32_e32 v170, v170                               // 00000002484C: 7F540BAA
	v_cvt_f32_i32_e32 v171, v171                               // 000000024850: 7F560BAB
	v_cvt_f32_i32_e32 v172, v172                               // 000000024854: 7F580BAC
	v_cvt_f32_i32_e32 v173, v173                               // 000000024858: 7F5A0BAD
	v_cvt_f32_i32_e32 v174, v174                               // 00000002485C: 7F5C0BAE
	v_cvt_f32_i32_e32 v175, v175                               // 000000024860: 7F5E0BAF
	v_mul_f32_e32 v160, v21, v160                              // 000000024864: 0B414115
	v_mul_f32_e32 v161, v21, v161                              // 000000024868: 0B434315
	v_mul_f32_e32 v162, v21, v162                              // 00000002486C: 0B454515
	v_mul_f32_e32 v163, v21, v163                              // 000000024870: 0B474715
	v_mul_f32_e32 v164, v21, v164                              // 000000024874: 0B494915
	v_mul_f32_e32 v165, v21, v165                              // 000000024878: 0B4B4B15
	v_mul_f32_e32 v166, v21, v166                              // 00000002487C: 0B4D4D15
	v_mul_f32_e32 v167, v21, v167                              // 000000024880: 0B4F4F15
	v_mul_f32_e32 v168, v21, v168                              // 000000024884: 0B515115
	v_mul_f32_e32 v169, v21, v169                              // 000000024888: 0B535315
	v_mul_f32_e32 v170, v21, v170                              // 00000002488C: 0B555515
	v_mul_f32_e32 v171, v21, v171                              // 000000024890: 0B575715
	v_mul_f32_e32 v172, v21, v172                              // 000000024894: 0B595915
	v_mul_f32_e32 v173, v21, v173                              // 000000024898: 0B5B5B15
	v_mul_f32_e32 v174, v21, v174                              // 00000002489C: 0B5D5D15
	v_mul_f32_e32 v175, v21, v175                              // 0000000248A0: 0B5F5F15
	v_mul_f32_dpp v160, v248, v160 quad_perm:[0,0,0,0] row_mask:0xf bank_mask:0xf// 0000000248A4: 0B4140FA FF0000F8
	v_mul_f32_dpp v161, v248, v161 quad_perm:[1,1,1,1] row_mask:0xf bank_mask:0xf// 0000000248AC: 0B4342FA FF0055F8
	v_mul_f32_dpp v162, v248, v162 quad_perm:[2,2,2,2] row_mask:0xf bank_mask:0xf// 0000000248B4: 0B4544FA FF00AAF8
	v_mul_f32_dpp v163, v248, v163 quad_perm:[3,3,3,3] row_mask:0xf bank_mask:0xf// 0000000248BC: 0B4746FA FF00FFF8
	v_mul_f32_dpp v164, v249, v164 quad_perm:[0,0,0,0] row_mask:0xf bank_mask:0xf// 0000000248C4: 0B4948FA FF0000F9
	v_mul_f32_dpp v165, v249, v165 quad_perm:[1,1,1,1] row_mask:0xf bank_mask:0xf// 0000000248CC: 0B4B4AFA FF0055F9
	v_mul_f32_dpp v166, v249, v166 quad_perm:[2,2,2,2] row_mask:0xf bank_mask:0xf// 0000000248D4: 0B4D4CFA FF00AAF9
	v_mul_f32_dpp v167, v249, v167 quad_perm:[3,3,3,3] row_mask:0xf bank_mask:0xf// 0000000248DC: 0B4F4EFA FF00FFF9
	v_mul_f32_dpp v168, v250, v168 quad_perm:[0,0,0,0] row_mask:0xf bank_mask:0xf// 0000000248E4: 0B5150FA FF0000FA
	v_mul_f32_dpp v169, v250, v169 quad_perm:[1,1,1,1] row_mask:0xf bank_mask:0xf// 0000000248EC: 0B5352FA FF0055FA
	v_mul_f32_dpp v170, v250, v170 quad_perm:[2,2,2,2] row_mask:0xf bank_mask:0xf// 0000000248F4: 0B5554FA FF00AAFA
	v_mul_f32_dpp v171, v250, v171 quad_perm:[3,3,3,3] row_mask:0xf bank_mask:0xf// 0000000248FC: 0B5756FA FF00FFFA
	v_mul_f32_dpp v172, v251, v172 quad_perm:[0,0,0,0] row_mask:0xf bank_mask:0xf// 000000024904: 0B5958FA FF0000FB
	v_mul_f32_dpp v173, v251, v173 quad_perm:[1,1,1,1] row_mask:0xf bank_mask:0xf// 00000002490C: 0B5B5AFA FF0055FB
	v_mul_f32_dpp v174, v251, v174 quad_perm:[2,2,2,2] row_mask:0xf bank_mask:0xf// 000000024914: 0B5D5CFA FF00AAFB
	v_mul_f32_dpp v175, v251, v175 quad_perm:[3,3,3,3] row_mask:0xf bank_mask:0xf// 00000002491C: 0B5F5EFA FF00FFFB
	s_cmp_le_i32 s90, s89                                      // 000000024924: BF05595A
	s_cbranch_scc1 label_8A3C                                  // 000000024928: BF850071
	v_mov_b32_e32 v66, 0xff800000                              // 00000002492C: 7E8402FF FF800000
	s_mov_b32 s60, s90                                         // 000000024934: BEBC005A
	s_add_u32 s61, s89, 0xff                                   // 000000024938: 803DFF59 000000FF
	v_mov_b32_e32 v64, s61                                     // 000000024940: 7E80023D
	v_lshrrev_b32_e32 v240, 4, v0                              // 000000024944: 21E00084
	v_mul_i32_i24_e32 v240, 4, v240                            // 000000024948: 0DE1E084
	v_add_u32_e32 v240, s60, v240                              // 00000002494C: 69E1E03C
	s_mov_b32 s61, 3                                           // 000000024950: BEBD0083
	s_mul_i32 s60, 16, s7                                      // 000000024954: 923C0790
	v_sub_u32_e64 v240, v240, s61                              // 000000024958: D13500F0 00007BF0
	v_add_u32_e32 v240, s60, v240                              // 000000024960: 69E1E03C
	v_add_u32_e32 v241, 1, v240                                // 000000024964: 69E3E081
	v_add_u32_e32 v242, 2, v240                                // 000000024968: 69E5E082
	v_add_u32_e32 v243, 3, v240                                // 00000002496C: 69E7E083
	v_cmp_le_u32_e64 s[40:41], v240, v64                       // 000000024970: D0CB0028 000281F0
	v_add_u32_e32 v240, 64, v240                               // 000000024978: 69E1E0C0
	s_nop 0                                                    // 00000002497C: BF800000
	v_cndmask_b32_e64 v160, v66, v160, s[40:41]                // 000000024980: D10000A0 00A34142
	v_cmp_le_u32_e64 s[40:41], v241, v64                       // 000000024988: D0CB0028 000281F1
	v_add_u32_e32 v241, 64, v241                               // 000000024990: 69E3E2C0
	s_nop 0                                                    // 000000024994: BF800000
	v_cndmask_b32_e64 v161, v66, v161, s[40:41]                // 000000024998: D10000A1 00A34342
	v_cmp_le_u32_e64 s[40:41], v242, v64                       // 0000000249A0: D0CB0028 000281F2
	v_add_u32_e32 v242, 64, v242                               // 0000000249A8: 69E5E4C0
	s_nop 0                                                    // 0000000249AC: BF800000
	v_cndmask_b32_e64 v162, v66, v162, s[40:41]                // 0000000249B0: D10000A2 00A34542
	v_cmp_le_u32_e64 s[40:41], v243, v64                       // 0000000249B8: D0CB0028 000281F3
	v_add_u32_e32 v243, 64, v243                               // 0000000249C0: 69E7E6C0
	s_nop 0                                                    // 0000000249C4: BF800000
	v_cndmask_b32_e64 v163, v66, v163, s[40:41]                // 0000000249C8: D10000A3 00A34742
	v_cmp_le_u32_e64 s[40:41], v240, v64                       // 0000000249D0: D0CB0028 000281F0
	v_add_u32_e32 v240, 64, v240                               // 0000000249D8: 69E1E0C0
	s_nop 0                                                    // 0000000249DC: BF800000
	v_cndmask_b32_e64 v164, v66, v164, s[40:41]                // 0000000249E0: D10000A4 00A34942
	v_cmp_le_u32_e64 s[40:41], v241, v64                       // 0000000249E8: D0CB0028 000281F1
	v_add_u32_e32 v241, 64, v241                               // 0000000249F0: 69E3E2C0
	s_nop 0                                                    // 0000000249F4: BF800000
	v_cndmask_b32_e64 v165, v66, v165, s[40:41]                // 0000000249F8: D10000A5 00A34B42
	v_cmp_le_u32_e64 s[40:41], v242, v64                       // 000000024A00: D0CB0028 000281F2
	v_add_u32_e32 v242, 64, v242                               // 000000024A08: 69E5E4C0
	s_nop 0                                                    // 000000024A0C: BF800000
	v_cndmask_b32_e64 v166, v66, v166, s[40:41]                // 000000024A10: D10000A6 00A34D42
	v_cmp_le_u32_e64 s[40:41], v243, v64                       // 000000024A18: D0CB0028 000281F3
	v_add_u32_e32 v243, 64, v243                               // 000000024A20: 69E7E6C0
	s_nop 0                                                    // 000000024A24: BF800000
	v_cndmask_b32_e64 v167, v66, v167, s[40:41]                // 000000024A28: D10000A7 00A34F42
	v_cmp_le_u32_e64 s[40:41], v240, v64                       // 000000024A30: D0CB0028 000281F0
	v_add_u32_e32 v240, 64, v240                               // 000000024A38: 69E1E0C0
	s_nop 0                                                    // 000000024A3C: BF800000
	v_cndmask_b32_e64 v168, v66, v168, s[40:41]                // 000000024A40: D10000A8 00A35142
	v_cmp_le_u32_e64 s[40:41], v241, v64                       // 000000024A48: D0CB0028 000281F1
	v_add_u32_e32 v241, 64, v241                               // 000000024A50: 69E3E2C0
	s_nop 0                                                    // 000000024A54: BF800000
	v_cndmask_b32_e64 v169, v66, v169, s[40:41]                // 000000024A58: D10000A9 00A35342
	v_cmp_le_u32_e64 s[40:41], v242, v64                       // 000000024A60: D0CB0028 000281F2
	v_add_u32_e32 v242, 64, v242                               // 000000024A68: 69E5E4C0
	s_nop 0                                                    // 000000024A6C: BF800000
	v_cndmask_b32_e64 v170, v66, v170, s[40:41]                // 000000024A70: D10000AA 00A35542
	v_cmp_le_u32_e64 s[40:41], v243, v64                       // 000000024A78: D0CB0028 000281F3
	v_add_u32_e32 v243, 64, v243                               // 000000024A80: 69E7E6C0
	s_nop 0                                                    // 000000024A84: BF800000
	v_cndmask_b32_e64 v171, v66, v171, s[40:41]                // 000000024A88: D10000AB 00A35742
	v_cmp_le_u32_e64 s[40:41], v240, v64                       // 000000024A90: D0CB0028 000281F0
	v_add_u32_e32 v240, 64, v240                               // 000000024A98: 69E1E0C0
	s_nop 0                                                    // 000000024A9C: BF800000
	v_cndmask_b32_e64 v172, v66, v172, s[40:41]                // 000000024AA0: D10000AC 00A35942
	v_cmp_le_u32_e64 s[40:41], v241, v64                       // 000000024AA8: D0CB0028 000281F1
	v_add_u32_e32 v241, 64, v241                               // 000000024AB0: 69E3E2C0
	s_nop 0                                                    // 000000024AB4: BF800000
	v_cndmask_b32_e64 v173, v66, v173, s[40:41]                // 000000024AB8: D10000AD 00A35B42
	v_cmp_le_u32_e64 s[40:41], v242, v64                       // 000000024AC0: D0CB0028 000281F2
	v_add_u32_e32 v242, 64, v242                               // 000000024AC8: 69E5E4C0
	s_nop 0                                                    // 000000024ACC: BF800000
	v_cndmask_b32_e64 v174, v66, v174, s[40:41]                // 000000024AD0: D10000AE 00A35D42
	v_cmp_le_u32_e64 s[40:41], v243, v64                       // 000000024AD8: D0CB0028 000281F3
	v_add_u32_e32 v243, 64, v243                               // 000000024AE0: 69E7E6C0
	s_nop 0                                                    // 000000024AE4: BF800000
	v_cndmask_b32_e64 v175, v66, v175, s[40:41]                // 000000024AE8: D10000AF 00A35F42

0000000000024af0 <label_8A3C>:
	s_add_u32 s90, s91, s90                                    // 000000024AF0: 805A5A5B
	v_mov_b32_e32 v48, v160                                    // 000000024AF4: 7E6003A0
	v_max3_f32 v48, v160, v161, v48                            // 000000024AF8: D1D30030 04C343A0
	v_max3_f32 v48, v162, v163, v48                            // 000000024B00: D1D30030 04C347A2
	v_max3_f32 v48, v164, v165, v48                            // 000000024B08: D1D30030 04C34BA4
	v_max3_f32 v48, v166, v167, v48                            // 000000024B10: D1D30030 04C34FA6
	v_max3_f32 v48, v168, v169, v48                            // 000000024B18: D1D30030 04C353A8
	v_max3_f32 v48, v170, v171, v48                            // 000000024B20: D1D30030 04C357AA
	v_max3_f32 v48, v172, v173, v48                            // 000000024B28: D1D30030 04C35BAC
	v_max3_f32 v48, v174, v175, v48                            // 000000024B30: D1D30030 04C35FAE
	ds_write_b32 v8, v48 offset:16896                          // 000000024B38: D81A4200 00003008
	v_mul_f32_e32 v232, v52, v232                              // 000000024B40: 0BD1D134
	v_mul_f32_e32 v233, v52, v233                              // 000000024B44: 0BD3D334
	v_mul_f32_e32 v234, v52, v234                              // 000000024B48: 0BD5D534
	v_mul_f32_e32 v235, v52, v235                              // 000000024B4C: 0BD7D734
	v_mul_f32_e32 v236, v52, v236                              // 000000024B50: 0BD9D934
	v_mul_f32_e32 v237, v52, v237                              // 000000024B54: 0BDBDB34
	v_mul_f32_e32 v238, v52, v238                              // 000000024B58: 0BDDDD34
	v_mul_f32_e32 v239, v52, v239                              // 000000024B5C: 0BDFDF34
	s_waitcnt lgkmcnt(0)                                       // 000000024B60: BF8CC07F
	s_barrier                                                  // 000000024B64: BF8A0000
	ds_read_b32 v64, v7 offset:16896                           // 000000024B68: D86C4200 40000007
	ds_read_b32 v65, v7 offset:16960                           // 000000024B70: D86C4240 41000007
	ds_read_b32 v66, v7 offset:17024                           // 000000024B78: D86C4280 42000007
	ds_read_b32 v67, v7 offset:17088                           // 000000024B80: D86C42C0 43000007
	ds_read_b32 v68, v7 offset:17152                           // 000000024B88: D86C4300 44000007
	ds_read_b32 v69, v7 offset:17216                           // 000000024B90: D86C4340 45000007
	ds_read_b32 v70, v7 offset:17280                           // 000000024B98: D86C4380 46000007
	ds_read_b32 v71, v7 offset:17344                           // 000000024BA0: D86C43C0 47000007
	ds_read_b32 v72, v7 offset:17408                           // 000000024BA8: D86C4400 48000007
	ds_read_b32 v73, v7 offset:17472                           // 000000024BB0: D86C4440 49000007
	ds_read_b32 v74, v7 offset:17536                           // 000000024BB8: D86C4480 4A000007
	ds_read_b32 v75, v7 offset:17600                           // 000000024BC0: D86C44C0 4B000007
	ds_read_b32 v76, v7 offset:17664                           // 000000024BC8: D86C4500 4C000007
	ds_read_b32 v77, v7 offset:17728                           // 000000024BD0: D86C4540 4D000007
	ds_read_b32 v78, v7 offset:17792                           // 000000024BD8: D86C4580 4E000007
	ds_read_b32 v79, v7 offset:17856                           // 000000024BE0: D86C45C0 4F000007
	v_cvt_f32_i32_e32 v200, v200                               // 000000024BE8: 7F900BC8
	v_cvt_f32_i32_e32 v201, v201                               // 000000024BEC: 7F920BC9
	v_cvt_f32_i32_e32 v202, v202                               // 000000024BF0: 7F940BCA
	v_cvt_f32_i32_e32 v203, v203                               // 000000024BF4: 7F960BCB
	v_cvt_f32_i32_e32 v204, v204                               // 000000024BF8: 7F980BCC
	v_cvt_f32_i32_e32 v205, v205                               // 000000024BFC: 7F9A0BCD
	v_cvt_f32_i32_e32 v206, v206                               // 000000024C00: 7F9C0BCE
	v_cvt_f32_i32_e32 v207, v207                               // 000000024C04: 7F9E0BCF
	v_mul_f32_e32 v200, v47, v200                              // 000000024C08: 0B91912F
	v_mul_f32_e32 v201, v47, v201                              // 000000024C0C: 0B93932F
	v_mul_f32_e32 v202, v47, v202                              // 000000024C10: 0B95952F
	v_mul_f32_e32 v203, v47, v203                              // 000000024C14: 0B97972F
	v_mul_f32_e32 v204, v47, v204                              // 000000024C18: 0B99992F
	v_mul_f32_e32 v205, v47, v205                              // 000000024C1C: 0B9B9B2F
	v_mul_f32_e32 v206, v47, v206                              // 000000024C20: 0B9D9D2F
	v_mul_f32_e32 v207, v47, v207                              // 000000024C24: 0B9F9F2F
	s_waitcnt lgkmcnt(0)                                       // 000000024C28: BF8CC07F
	v_max3_f32 v48, v64, v65, v48                              // 000000024C2C: D1D30030 04C28340
	v_max3_f32 v48, v66, v67, v48                              // 000000024C34: D1D30030 04C28742
	v_max3_f32 v48, v68, v69, v48                              // 000000024C3C: D1D30030 04C28B44
	v_max3_f32 v48, v70, v71, v48                              // 000000024C44: D1D30030 04C28F46
	v_max3_f32 v48, v72, v73, v48                              // 000000024C4C: D1D30030 04C29348
	v_max3_f32 v48, v74, v75, v48                              // 000000024C54: D1D30030 04C2974A
	v_max3_f32 v48, v76, v77, v48                              // 000000024C5C: D1D30030 04C29B4C
	v_max3_f32 v48, v78, v79, v48                              // 000000024C64: D1D30030 04C29F4E
	v_mov_b32_e32 v64, 0xff800000                              // 000000024C6C: 7E8002FF FF800000
	v_cmp_eq_u32_e64 s[40:41], v64, v14                        // 000000024C74: D0CA0028 00021D40
	s_nop 1                                                    // 000000024C7C: BF800001
	v_max_f32_e32 v15, v48, v14                                // 000000024C80: 161E1D30
	v_mul_f32_e32 v53, s64, v15                                // 000000024C84: 0A6A1E40
	v_fma_f32 v160, v160, s64, -v53                            // 000000024C88: D1CB00A0 84D481A0
	v_fma_f32 v161, v161, s64, -v53                            // 000000024C90: D1CB00A1 84D481A1
	v_fma_f32 v162, v162, s64, -v53                            // 000000024C98: D1CB00A2 84D481A2
	v_fma_f32 v163, v163, s64, -v53                            // 000000024CA0: D1CB00A3 84D481A3
	v_fma_f32 v164, v164, s64, -v53                            // 000000024CA8: D1CB00A4 84D481A4
	v_fma_f32 v165, v165, s64, -v53                            // 000000024CB0: D1CB00A5 84D481A5
	v_fma_f32 v166, v166, s64, -v53                            // 000000024CB8: D1CB00A6 84D481A6
	v_fma_f32 v167, v167, s64, -v53                            // 000000024CC0: D1CB00A7 84D481A7
	v_fma_f32 v168, v168, s64, -v53                            // 000000024CC8: D1CB00A8 84D481A8
	v_fma_f32 v169, v169, s64, -v53                            // 000000024CD0: D1CB00A9 84D481A9
	v_fma_f32 v170, v170, s64, -v53                            // 000000024CD8: D1CB00AA 84D481AA
	v_fma_f32 v171, v171, s64, -v53                            // 000000024CE0: D1CB00AB 84D481AB
	v_fma_f32 v172, v172, s64, -v53                            // 000000024CE8: D1CB00AC 84D481AC
	v_fma_f32 v173, v173, s64, -v53                            // 000000024CF0: D1CB00AD 84D481AD
	v_fma_f32 v174, v174, s64, -v53                            // 000000024CF8: D1CB00AE 84D481AE
	v_fma_f32 v175, v175, s64, -v53                            // 000000024D00: D1CB00AF 84D481AF
	v_exp_f32_e32 v160, v160                                   // 000000024D08: 7F4041A0
	v_exp_f32_e32 v161, v161                                   // 000000024D0C: 7F4241A1
	v_exp_f32_e32 v162, v162                                   // 000000024D10: 7F4441A2
	v_exp_f32_e32 v163, v163                                   // 000000024D14: 7F4641A3
	v_exp_f32_e32 v164, v164                                   // 000000024D18: 7F4841A4
	v_exp_f32_e32 v165, v165                                   // 000000024D1C: 7F4A41A5
	v_exp_f32_e32 v166, v166                                   // 000000024D20: 7F4C41A6
	v_exp_f32_e32 v167, v167                                   // 000000024D24: 7F4E41A7
	v_exp_f32_e32 v168, v168                                   // 000000024D28: 7F5041A8
	v_exp_f32_e32 v169, v169                                   // 000000024D2C: 7F5241A9
	v_exp_f32_e32 v170, v170                                   // 000000024D30: 7F5441AA
	v_exp_f32_e32 v171, v171                                   // 000000024D34: 7F5641AB
	v_exp_f32_e32 v172, v172                                   // 000000024D38: 7F5841AC
	v_exp_f32_e32 v173, v173                                   // 000000024D3C: 7F5A41AD
	v_exp_f32_e32 v174, v174                                   // 000000024D40: 7F5C41AE
	v_exp_f32_e32 v175, v175                                   // 000000024D44: 7F5E41AF
	v_mul_f32_dpp v240, v252, v160 quad_perm:[0,0,0,0] row_mask:0xf bank_mask:0xf// 000000024D48: 0BE140FA FF0000FC
	v_mul_f32_dpp v241, v252, v161 quad_perm:[1,1,1,1] row_mask:0xf bank_mask:0xf// 000000024D50: 0BE342FA FF0055FC
	v_mul_f32_dpp v242, v252, v162 quad_perm:[2,2,2,2] row_mask:0xf bank_mask:0xf// 000000024D58: 0BE544FA FF00AAFC
	v_mul_f32_dpp v243, v252, v163 quad_perm:[3,3,3,3] row_mask:0xf bank_mask:0xf// 000000024D60: 0BE746FA FF00FFFC
	v_mul_f32_dpp v244, v253, v164 quad_perm:[0,0,0,0] row_mask:0xf bank_mask:0xf// 000000024D68: 0BE948FA FF0000FD
	v_mul_f32_dpp v245, v253, v165 quad_perm:[1,1,1,1] row_mask:0xf bank_mask:0xf// 000000024D70: 0BEB4AFA FF0055FD
	v_mul_f32_dpp v246, v253, v166 quad_perm:[2,2,2,2] row_mask:0xf bank_mask:0xf// 000000024D78: 0BED4CFA FF00AAFD
	v_mul_f32_dpp v247, v253, v167 quad_perm:[3,3,3,3] row_mask:0xf bank_mask:0xf// 000000024D80: 0BEF4EFA FF00FFFD
	v_mul_f32_dpp v248, v254, v168 quad_perm:[0,0,0,0] row_mask:0xf bank_mask:0xf// 000000024D88: 0BF150FA FF0000FE
	v_mul_f32_dpp v249, v254, v169 quad_perm:[1,1,1,1] row_mask:0xf bank_mask:0xf// 000000024D90: 0BF352FA FF0055FE
	v_mul_f32_dpp v250, v254, v170 quad_perm:[2,2,2,2] row_mask:0xf bank_mask:0xf// 000000024D98: 0BF554FA FF00AAFE
	v_mul_f32_dpp v251, v254, v171 quad_perm:[3,3,3,3] row_mask:0xf bank_mask:0xf// 000000024DA0: 0BF756FA FF00FFFE
	v_mul_f32_dpp v252, v255, v172 quad_perm:[0,0,0,0] row_mask:0xf bank_mask:0xf// 000000024DA8: 0BF958FA FF0000FF
	v_mul_f32_dpp v253, v255, v173 quad_perm:[1,1,1,1] row_mask:0xf bank_mask:0xf// 000000024DB0: 0BFB5AFA FF0055FF
	v_mul_f32_dpp v254, v255, v174 quad_perm:[2,2,2,2] row_mask:0xf bank_mask:0xf// 000000024DB8: 0BFD5CFA FF00AAFF
	v_mul_f32_dpp v255, v255, v175 quad_perm:[3,3,3,3] row_mask:0xf bank_mask:0xf// 000000024DC0: 0BFF5EFA FF00FFFF
	v_mov_b32_e32 v48, 0x358637bd                              // 000000024DC8: 7E6002FF 358637BD
	v_max3_f32 v48, |v240|, |v241|, v48                        // 000000024DD0: D1D30330 04C3E3F0
	v_max3_f32 v48, |v242|, |v243|, v48                        // 000000024DD8: D1D30330 04C3E7F2
	v_max3_f32 v48, |v244|, |v245|, v48                        // 000000024DE0: D1D30330 04C3EBF4
	v_max3_f32 v48, |v246|, |v247|, v48                        // 000000024DE8: D1D30330 04C3EFF6
	v_max3_f32 v48, |v248|, |v249|, v48                        // 000000024DF0: D1D30330 04C3F3F8
	v_max3_f32 v48, |v250|, |v251|, v48                        // 000000024DF8: D1D30330 04C3F7FA
	v_max3_f32 v48, |v252|, |v253|, v48                        // 000000024E00: D1D30330 04C3FBFC
	v_max3_f32 v48, |v254|, |v255|, v48                        // 000000024E08: D1D30330 04C3FFFE
	ds_write_b32 v8, v48 offset:20992                          // 000000024E10: D81A5200 00003008
	v_sub_f32_e32 v52, v14, v15                                // 000000024E18: 04681F0E
	v_cndmask_b32_e64 v52, v52, 0, s[40:41]                    // 000000024E1C: D1000034 00A10134
	v_mov_b32_e32 v14, v15                                     // 000000024E24: 7E1C030F
	v_mul_f32_e32 v52, s64, v52                                // 000000024E28: 0A686840
	v_exp_f32_e32 v52, v52                                     // 000000024E2C: 7E684134
	s_waitcnt lgkmcnt(0)                                       // 000000024E30: BF8CC07F
	s_barrier                                                  // 000000024E34: BF8A0000
	ds_read_b32 v64, v7 offset:20992                           // 000000024E38: D86C5200 40000007
	ds_read_b32 v65, v7 offset:21056                           // 000000024E40: D86C5240 41000007
	ds_read_b32 v66, v7 offset:21120                           // 000000024E48: D86C5280 42000007
	ds_read_b32 v67, v7 offset:21184                           // 000000024E50: D86C52C0 43000007
	ds_read_b32 v68, v7 offset:21248                           // 000000024E58: D86C5300 44000007
	ds_read_b32 v69, v7 offset:21312                           // 000000024E60: D86C5340 45000007
	ds_read_b32 v70, v7 offset:21376                           // 000000024E68: D86C5380 46000007
	ds_read_b32 v71, v7 offset:21440                           // 000000024E70: D86C53C0 47000007
	ds_read_b32 v72, v7 offset:21504                           // 000000024E78: D86C5400 48000007
	ds_read_b32 v73, v7 offset:21568                           // 000000024E80: D86C5440 49000007
	ds_read_b32 v74, v7 offset:21632                           // 000000024E88: D86C5480 4A000007
	ds_read_b32 v75, v7 offset:21696                           // 000000024E90: D86C54C0 4B000007
	ds_read_b32 v76, v7 offset:21760                           // 000000024E98: D86C5500 4C000007
	ds_read_b32 v77, v7 offset:21824                           // 000000024EA0: D86C5540 4D000007
	ds_read_b32 v78, v7 offset:21888                           // 000000024EA8: D86C5580 4E000007
	ds_read_b32 v79, v7 offset:21952                           // 000000024EB0: D86C55C0 4F000007
	v_mul_f32_e32 v41, v52, v41                                // 000000024EB8: 0A525334
	v_mov_b32_e32 v15, v160                                    // 000000024EBC: 7E1E03A0
	v_add_f32_e32 v15, v161, v15                               // 000000024EC0: 021E1FA1
	v_add_f32_e32 v15, v162, v15                               // 000000024EC4: 021E1FA2
	v_add_f32_e32 v15, v163, v15                               // 000000024EC8: 021E1FA3
	v_add_f32_e32 v15, v164, v15                               // 000000024ECC: 021E1FA4
	v_add_f32_e32 v15, v165, v15                               // 000000024ED0: 021E1FA5
	v_add_f32_e32 v15, v166, v15                               // 000000024ED4: 021E1FA6
	v_add_f32_e32 v15, v167, v15                               // 000000024ED8: 021E1FA7
	v_add_f32_e32 v15, v168, v15                               // 000000024EDC: 021E1FA8
	v_add_f32_e32 v15, v169, v15                               // 000000024EE0: 021E1FA9
	v_add_f32_e32 v15, v170, v15                               // 000000024EE4: 021E1FAA
	v_add_f32_e32 v15, v171, v15                               // 000000024EE8: 021E1FAB
	v_add_f32_e32 v15, v172, v15                               // 000000024EEC: 021E1FAC
	v_add_f32_e32 v15, v173, v15                               // 000000024EF0: 021E1FAD
	v_add_f32_e32 v15, v174, v15                               // 000000024EF4: 021E1FAE
	v_add_f32_e32 v15, v175, v15                               // 000000024EF8: 021E1FAF
	v_add_f32_e32 v41, v15, v41                                // 000000024EFC: 0252530F
	s_waitcnt lgkmcnt(0)                                       // 000000024F00: BF8CC07F
	v_max3_f32 v48, |v64|, |v65|, v48                          // 000000024F04: D1D30330 04C28340
	v_max3_f32 v48, |v66|, |v67|, v48                          // 000000024F0C: D1D30330 04C28742
	v_max3_f32 v48, |v68|, |v69|, v48                          // 000000024F14: D1D30330 04C28B44
	v_max3_f32 v48, |v70|, |v71|, v48                          // 000000024F1C: D1D30330 04C28F46
	v_max3_f32 v48, |v72|, |v73|, v48                          // 000000024F24: D1D30330 04C29348
	v_max3_f32 v48, |v74|, |v75|, v48                          // 000000024F2C: D1D30330 04C2974A
	v_max3_f32 v48, |v76|, |v77|, v48                          // 000000024F34: D1D30330 04C29B4C
	v_max3_f32 v48, |v78|, |v79|, v48                          // 000000024F3C: D1D30330 04C29F4E
	s_nop 2                                                    // 000000024F44: BF800002
	v_rcp_f32_e32 v48, v48                                     // 000000024F48: 7E604530
	s_nop 1                                                    // 000000024F4C: BF800001
	v_mul_f32_e32 v48, 0x42fe0000, v48                         // 000000024F50: 0A6060FF 42FE0000
	v_mul_f32_e32 v160, v48, v240                              // 000000024F58: 0B41E130
	v_mul_f32_e32 v161, v48, v241                              // 000000024F5C: 0B43E330
	v_mul_f32_e32 v162, v48, v242                              // 000000024F60: 0B45E530
	v_mul_f32_e32 v163, v48, v243                              // 000000024F64: 0B47E730
	v_mul_f32_e32 v164, v48, v244                              // 000000024F68: 0B49E930
	v_mul_f32_e32 v165, v48, v245                              // 000000024F6C: 0B4BEB30
	v_mul_f32_e32 v166, v48, v246                              // 000000024F70: 0B4DED30
	v_mul_f32_e32 v167, v48, v247                              // 000000024F74: 0B4FEF30
	v_mul_f32_e32 v168, v48, v248                              // 000000024F78: 0B51F130
	v_mul_f32_e32 v169, v48, v249                              // 000000024F7C: 0B53F330
	v_mul_f32_e32 v170, v48, v250                              // 000000024F80: 0B55F530
	v_mul_f32_e32 v171, v48, v251                              // 000000024F84: 0B57F730
	v_mul_f32_e32 v172, v48, v252                              // 000000024F88: 0B59F930
	v_mul_f32_e32 v173, v48, v253                              // 000000024F8C: 0B5BFB30
	v_mul_f32_e32 v174, v48, v254                              // 000000024F90: 0B5DFD30
	v_mul_f32_e32 v175, v48, v255                              // 000000024F94: 0B5FFF30
	v_cvt_i32_f32_e32 v160, v160                               // 000000024F98: 7F4011A0
	v_cvt_i32_f32_e32 v161, v161                               // 000000024F9C: 7F4211A1
	v_cvt_i32_f32_e32 v162, v162                               // 000000024FA0: 7F4411A2
	v_cvt_i32_f32_e32 v163, v163                               // 000000024FA4: 7F4611A3
	v_cvt_i32_f32_e32 v164, v164                               // 000000024FA8: 7F4811A4
	v_cvt_i32_f32_e32 v165, v165                               // 000000024FAC: 7F4A11A5
	v_cvt_i32_f32_e32 v166, v166                               // 000000024FB0: 7F4C11A6
	v_cvt_i32_f32_e32 v167, v167                               // 000000024FB4: 7F4E11A7
	v_cvt_i32_f32_e32 v168, v168                               // 000000024FB8: 7F5011A8
	v_cvt_i32_f32_e32 v169, v169                               // 000000024FBC: 7F5211A9
	v_cvt_i32_f32_e32 v170, v170                               // 000000024FC0: 7F5411AA
	v_cvt_i32_f32_e32 v171, v171                               // 000000024FC4: 7F5611AB
	v_cvt_i32_f32_e32 v172, v172                               // 000000024FC8: 7F5811AC
	v_cvt_i32_f32_e32 v173, v173                               // 000000024FCC: 7F5A11AD
	v_cvt_i32_f32_e32 v174, v174                               // 000000024FD0: 7F5C11AE
	v_cvt_i32_f32_e32 v175, v175                               // 000000024FD4: 7F5E11AF
	v_perm_b32 v160, v161, v160, s53                           // 000000024FD8: D1ED00A0 00D741A1
	v_perm_b32 v160, v162, v160, s54                           // 000000024FE0: D1ED00A0 00DB41A2
	v_perm_b32 v160, v163, v160, s55                           // 000000024FE8: D1ED00A0 00DF41A3
	v_perm_b32 v161, v165, v164, s53                           // 000000024FF0: D1ED00A1 00D749A5
	v_perm_b32 v161, v166, v161, s54                           // 000000024FF8: D1ED00A1 00DB43A6
	v_perm_b32 v161, v167, v161, s55                           // 000000025000: D1ED00A1 00DF43A7
	v_perm_b32 v162, v169, v168, s53                           // 000000025008: D1ED00A2 00D751A9
	v_perm_b32 v162, v170, v162, s54                           // 000000025010: D1ED00A2 00DB45AA
	v_perm_b32 v162, v171, v162, s55                           // 000000025018: D1ED00A2 00DF45AB
	v_perm_b32 v163, v173, v172, s53                           // 000000025020: D1ED00A3 00D759AD
	v_perm_b32 v163, v174, v163, s54                           // 000000025028: D1ED00A3 00DB47AE
	v_perm_b32 v163, v175, v163, s55                           // 000000025030: D1ED00A3 00DF47AF
	ds_write_b32 v10, v160 offset:37376                        // 000000025038: D81A9200 0000A00A
	ds_write_b32 v10, v161 offset:38400                        // 000000025040: D81A9600 0000A10A
	ds_write_b32 v10, v162 offset:39424                        // 000000025048: D81A9A00 0000A20A
	ds_write_b32 v10, v163 offset:40448                        // 000000025050: D81A9E00 0000A30A
	v_add_f32_e32 v232, v232, v200                             // 000000025058: 03D191E8
	v_add_f32_e32 v233, v233, v201                             // 00000002505C: 03D393E9
	v_add_f32_e32 v234, v234, v202                             // 000000025060: 03D595EA
	v_add_f32_e32 v235, v235, v203                             // 000000025064: 03D797EB
	v_add_f32_e32 v236, v236, v204                             // 000000025068: 03D999EC
	v_add_f32_e32 v237, v237, v205                             // 00000002506C: 03DB9BED
	v_add_f32_e32 v238, v238, v206                             // 000000025070: 03DD9DEE
	v_add_f32_e32 v239, v239, v207                             // 000000025074: 03DF9FEF
	v_rcp_f32_e32 v47, v48                                     // 000000025078: 7E5E4530
	s_waitcnt lgkmcnt(0)                                       // 00000002507C: BF8CC07F
	s_barrier                                                  // 000000025080: BF8A0000
	ds_read_b64 v[160:161], v9 offset:37376                    // 000000025084: D8EC9200 A0000009
	ds_read_b64 v[162:163], v9 offset:37504                    // 00000002508C: D8EC9280 A2000009
	ds_read_b64 v[164:165], v9 offset:38400                    // 000000025094: D8EC9600 A4000009
	ds_read_b64 v[166:167], v9 offset:38528                    // 00000002509C: D8EC9680 A6000009
	ds_read_b64 v[168:169], v9 offset:39424                    // 0000000250A4: D8EC9A00 A8000009
	ds_read_b64 v[170:171], v9 offset:39552                    // 0000000250AC: D8EC9A80 AA000009
	ds_read_b64 v[172:173], v9 offset:40448                    // 0000000250B4: D8EC9E00 AC000009
	ds_read_b64 v[174:175], v9 offset:40576                    // 0000000250BC: D8EC9E80 AE000009
	s_waitcnt vmcnt(15)                                        // 0000000250C4: BF8C0F7F
	v_mfma_i32_16x16x32_i8 v[176:179], a[96:97], v[112:113], 0 // 0000000250C8: D3D700B0 0A02E160
	v_mfma_i32_16x16x32_i8 v[176:179], a[98:99], v[114:115], v[176:179]// 0000000250D0: D3D700B0 0EC2E562
	buffer_load_dwordx4 a[80:83], v30, s[20:23], 0 offen offset:1024// 0000000250D8: E05C1400 8085501E
	v_mfma_i32_16x16x32_i8 v[176:179], a[100:101], v[116:117], v[176:179]// 0000000250E0: D3D700B0 0EC2E964
	v_mfma_i32_16x16x32_i8 v[176:179], a[102:103], v[118:119], v[176:179]// 0000000250E8: D3D700B0 0EC2ED66
	v_mfma_i32_16x16x32_i8 v[176:179], a[104:105], v[120:121], v[176:179]// 0000000250F0: D3D700B0 0EC2F168
	v_mfma_i32_16x16x32_i8 v[176:179], a[106:107], v[122:123], v[176:179]// 0000000250F8: D3D700B0 0EC2F56A
	buffer_load_dwordx4 a[84:87], v31, s[20:23], 0 offen offset:1024// 000000025100: E05C1400 8085541F
	v_mfma_i32_16x16x32_i8 v[176:179], a[108:109], v[124:125], v[176:179]// 000000025108: D3D700B0 0EC2F96C
	v_mfma_i32_16x16x32_i8 v[176:179], a[110:111], v[126:127], v[176:179]// 000000025110: D3D700B0 0EC2FD6E
	v_mfma_i32_16x16x32_i8 v[180:183], a[112:113], v[112:113], 0// 000000025118: D3D700B4 0A02E170
	v_mfma_i32_16x16x32_i8 v[180:183], a[114:115], v[114:115], v[180:183]// 000000025120: D3D700B4 0ED2E572
	buffer_load_dwordx4 a[88:91], v32, s[20:23], 0 offen offset:1024// 000000025128: E05C1400 80855820
	v_mfma_i32_16x16x32_i8 v[180:183], a[116:117], v[116:117], v[180:183]// 000000025130: D3D700B4 0ED2E974
	v_mfma_i32_16x16x32_i8 v[180:183], a[118:119], v[118:119], v[180:183]// 000000025138: D3D700B4 0ED2ED76
	v_mfma_i32_16x16x32_i8 v[180:183], a[120:121], v[120:121], v[180:183]// 000000025140: D3D700B4 0ED2F178
	v_mfma_i32_16x16x32_i8 v[180:183], a[122:123], v[122:123], v[180:183]// 000000025148: D3D700B4 0ED2F57A
	buffer_load_dwordx4 a[92:95], v33, s[20:23], 0 offen offset:1024// 000000025150: E05C1400 80855C21
	v_mfma_i32_16x16x32_i8 v[180:183], a[124:125], v[124:125], v[180:183]// 000000025158: D3D700B4 0ED2F97C
	s_lshr_b32 s57, s70, 4                                     // 000000025160: 8F398446
	s_add_u32 s57, 48, s57                                     // 000000025164: 803939B0
	v_mfma_i32_16x16x32_i8 v[180:183], a[126:127], v[126:127], v[180:183]// 000000025168: D3D700B4 0ED2FD7E
	s_cmp_ge_u32 s57, s73                                      // 000000025170: BF094939
	s_cselect_b32 s56, 0, s56                                  // 000000025174: 85383880
	v_mfma_i32_16x16x32_i8 v[184:187], a[96:97], v[128:129], 0 // 000000025178: D3D700B8 0A030160
	v_mfma_i32_16x16x32_i8 v[184:187], a[98:99], v[130:131], v[184:187]// 000000025180: D3D700B8 0EE30562
	v_mfma_i32_16x16x32_i8 v[184:187], a[100:101], v[132:133], v[184:187]// 000000025188: D3D700B8 0EE30964
	v_mfma_i32_16x16x32_i8 v[184:187], a[102:103], v[134:135], v[184:187]// 000000025190: D3D700B8 0EE30D66
	v_mfma_i32_16x16x32_i8 v[184:187], a[104:105], v[136:137], v[184:187]// 000000025198: D3D700B8 0EE31168
	v_mfma_i32_16x16x32_i8 v[184:187], a[106:107], v[138:139], v[184:187]// 0000000251A0: D3D700B8 0EE3156A
	v_mfma_i32_16x16x32_i8 v[184:187], a[108:109], v[140:141], v[184:187]// 0000000251A8: D3D700B8 0EE3196C
	v_mfma_i32_16x16x32_i8 v[184:187], a[110:111], v[142:143], v[184:187]// 0000000251B0: D3D700B8 0EE31D6E
	v_mfma_i32_16x16x32_i8 v[188:191], a[112:113], v[128:129], 0// 0000000251B8: D3D700BC 0A030170
	v_mfma_i32_16x16x32_i8 v[188:191], a[114:115], v[130:131], v[188:191]// 0000000251C0: D3D700BC 0EF30572
	v_mfma_i32_16x16x32_i8 v[188:191], a[116:117], v[132:133], v[188:191]// 0000000251C8: D3D700BC 0EF30974
	v_mfma_i32_16x16x32_i8 v[188:191], a[118:119], v[134:135], v[188:191]// 0000000251D0: D3D700BC 0EF30D76
	v_mfma_i32_16x16x32_i8 v[188:191], a[120:121], v[136:137], v[188:191]// 0000000251D8: D3D700BC 0EF31178
	v_mfma_i32_16x16x32_i8 v[188:191], a[122:123], v[138:139], v[188:191]// 0000000251E0: D3D700BC 0EF3157A
	v_mfma_i32_16x16x32_i8 v[188:191], a[124:125], v[140:141], v[188:191]// 0000000251E8: D3D700BC 0EF3197C
	v_mfma_i32_16x16x32_i8 v[188:191], a[126:127], v[142:143], v[188:191]// 0000000251F0: D3D700BC 0EF31D7E
	v_mfma_i32_16x16x32_i8 v[192:195], a[96:97], v[144:145], 0 // 0000000251F8: D3D700C0 0A032160
	v_mfma_i32_16x16x32_i8 v[192:195], a[98:99], v[146:147], v[192:195]// 000000025200: D3D700C0 0F032562
	v_mfma_i32_16x16x32_i8 v[192:195], a[100:101], v[148:149], v[192:195]// 000000025208: D3D700C0 0F032964
	v_mfma_i32_16x16x32_i8 v[192:195], a[102:103], v[150:151], v[192:195]// 000000025210: D3D700C0 0F032D66
	v_mfma_i32_16x16x32_i8 v[192:195], a[104:105], v[152:153], v[192:195]// 000000025218: D3D700C0 0F033168
	v_mfma_i32_16x16x32_i8 v[192:195], a[106:107], v[154:155], v[192:195]// 000000025220: D3D700C0 0F03356A
	v_mfma_i32_16x16x32_i8 v[192:195], a[108:109], v[156:157], v[192:195]// 000000025228: D3D700C0 0F03396C
	v_mfma_i32_16x16x32_i8 v[192:195], a[110:111], v[158:159], v[192:195]// 000000025230: D3D700C0 0F033D6E
	v_mfma_i32_16x16x32_i8 v[196:199], a[112:113], v[144:145], 0// 000000025238: D3D700C4 0A032170
	v_mfma_i32_16x16x32_i8 v[196:199], a[114:115], v[146:147], v[196:199]// 000000025240: D3D700C4 0F132572
	v_mfma_i32_16x16x32_i8 v[196:199], a[116:117], v[148:149], v[196:199]// 000000025248: D3D700C4 0F132974
	v_mfma_i32_16x16x32_i8 v[196:199], a[118:119], v[150:151], v[196:199]// 000000025250: D3D700C4 0F132D76
	v_mfma_i32_16x16x32_i8 v[196:199], a[120:121], v[152:153], v[196:199]// 000000025258: D3D700C4 0F133178
	v_mfma_i32_16x16x32_i8 v[196:199], a[122:123], v[154:155], v[196:199]// 000000025260: D3D700C4 0F13357A
	v_mfma_i32_16x16x32_i8 v[196:199], a[124:125], v[156:157], v[196:199]// 000000025268: D3D700C4 0F13397C
	v_mfma_i32_16x16x32_i8 v[196:199], a[126:127], v[158:159], v[196:199]// 000000025270: D3D700C4 0F133D7E
	v_mfma_i32_16x16x32_i8 v[200:203], a[96:97], v[160:161], 0 // 000000025278: D3D700C8 0A034160
	v_mfma_i32_16x16x32_i8 v[200:203], a[98:99], v[162:163], v[200:203]// 000000025280: D3D700C8 0F234562
	v_mfma_i32_16x16x32_i8 v[200:203], a[100:101], v[164:165], v[200:203]// 000000025288: D3D700C8 0F234964
	v_mfma_i32_16x16x32_i8 v[200:203], a[102:103], v[166:167], v[200:203]// 000000025290: D3D700C8 0F234D66
	v_mfma_i32_16x16x32_i8 v[200:203], a[104:105], v[168:169], v[200:203]// 000000025298: D3D700C8 0F235168
	v_mfma_i32_16x16x32_i8 v[200:203], a[106:107], v[170:171], v[200:203]// 0000000252A0: D3D700C8 0F23556A
	v_mfma_i32_16x16x32_i8 v[200:203], a[108:109], v[172:173], v[200:203]// 0000000252A8: D3D700C8 0F23596C
	v_mfma_i32_16x16x32_i8 v[200:203], a[110:111], v[174:175], v[200:203]// 0000000252B0: D3D700C8 0F235D6E
	v_mfma_i32_16x16x32_i8 v[204:207], a[112:113], v[160:161], 0// 0000000252B8: D3D700CC 0A034170
	v_mfma_i32_16x16x32_i8 v[204:207], a[114:115], v[162:163], v[204:207]// 0000000252C0: D3D700CC 0F334572
	v_mfma_i32_16x16x32_i8 v[204:207], a[116:117], v[164:165], v[204:207]// 0000000252C8: D3D700CC 0F334974
	v_mfma_i32_16x16x32_i8 v[204:207], a[118:119], v[166:167], v[204:207]// 0000000252D0: D3D700CC 0F334D76
	v_mfma_i32_16x16x32_i8 v[204:207], a[120:121], v[168:169], v[204:207]// 0000000252D8: D3D700CC 0F335178
	v_mfma_i32_16x16x32_i8 v[204:207], a[122:123], v[170:171], v[204:207]// 0000000252E0: D3D700CC 0F33557A
	v_mfma_i32_16x16x32_i8 v[204:207], a[124:125], v[172:173], v[204:207]// 0000000252E8: D3D700CC 0F33597C
	v_mfma_i32_16x16x32_i8 v[204:207], a[126:127], v[174:175], v[204:207]// 0000000252F0: D3D700CC 0F335D7E
	v_add_u32_e32 v1, s56, v1                                  // 0000000252F8: 68020238
	s_addk_i32 s70, 0x100                                      // 0000000252FC: B7460100
	s_cmp_lt_i32 s70, s71                                      // 000000025300: BF044746
	s_cbranch_scc0 label_8C43                                  // 000000025304: BF840001
	s_branch label_76CC                                        // 000000025308: BF82EA89

000000000002530c <label_8C43>:
	s_nop 0                                                    // 00000002530C: BF800000
	s_nop 0                                                    // 000000025310: BF800000
	s_branch label_A1BD                                        // 000000025314: BF821577

0000000000025318 <label_8C46>:
	s_waitcnt vmcnt(8) lgkmcnt(0)                              // 000000025318: BF8C0078
	v_mul_u32_u24_dpp v64, v17, v54 row_newbcast:0 row_mask:0xf bank_mask:0xf// 00000002531C: 10806CFA FF015011
	v_mul_u32_u24_dpp v65, v17, v54 row_newbcast:4 row_mask:0xf bank_mask:0xf// 000000025324: 10826CFA FF015411
	v_mul_u32_u24_dpp v66, v17, v54 row_newbcast:8 row_mask:0xf bank_mask:0xf// 00000002532C: 10846CFA FF015811
	v_mul_u32_u24_dpp v67, v17, v54 row_newbcast:12 row_mask:0xf bank_mask:0xf// 000000025334: 10866CFA FF015C11
	v_add_u32_e32 v26, v64, v5                                 // 00000002533C: 68340B40
	v_add_u32_e32 v27, v65, v5                                 // 000000025340: 68360B41
	v_add_u32_e32 v28, v66, v5                                 // 000000025344: 68380B42
	v_add_u32_e32 v29, v67, v5                                 // 000000025348: 683A0B43
	v_mul_u32_u24_dpp v64, v17, v63 quad_perm:[0,0,0,0] row_mask:0xf bank_mask:0xf// 00000002534C: 10807EFA FF000011
	v_add_u32_e32 v3, v64, v59                                 // 000000025354: 68067740
	v_mul_u32_u24_dpp v64, v17, v63 quad_perm:[0,0,0,0] row_mask:0xf bank_mask:0xf// 000000025358: 10807EFA FF000011
	v_add_u32_e32 v56, v64, v60                                // 000000025360: 68707940
	v_mfma_i32_16x16x32_i8 v[112:115], a[0:1], v[80:81], 0     // 000000025364: D3D70070 0A02A100
	buffer_load_dwordx4 a[32:35], v26, s[16:19], 0 offen       // 00000002536C: E05C1000 8084201A
	v_mfma_i32_16x16x32_i8 v[112:115], a[2:3], v[82:83], v[112:115]// 000000025374: D3D70070 0DC2A502
	v_mfma_i32_16x16x32_i8 v[112:115], a[4:5], v[84:85], v[112:115]// 00000002537C: D3D70070 0DC2A904
	buffer_load_dword v16, v1, s[24:27], 0 offen               // 000000025384: E0501000 80061001
	v_mfma_i32_16x16x32_i8 v[112:115], a[6:7], v[86:87], v[112:115]// 00000002538C: D3D70070 0DC2AD06
	v_mfma_i32_16x16x32_i8 v[116:119], a[8:9], v[80:81], 0     // 000000025394: D3D70074 0A02A108
	buffer_load_dwordx4 a[36:39], v26, s[16:19], 0 offen offset:1024// 00000002539C: E05C1400 8084241A
	v_mfma_i32_16x16x32_i8 v[116:119], a[10:11], v[82:83], v[116:119]// 0000000253A4: D3D70074 0DD2A50A
	v_mfma_i32_16x16x32_i8 v[116:119], a[12:13], v[84:85], v[116:119]// 0000000253AC: D3D70074 0DD2A90C
	v_mfma_i32_16x16x32_i8 v[116:119], a[14:15], v[86:87], v[116:119]// 0000000253B4: D3D70074 0DD2AD0E
	v_mfma_i32_16x16x32_i8 v[120:123], a[16:17], v[80:81], 0   // 0000000253BC: D3D70078 0A02A110
	buffer_load_dwordx4 a[40:43], v27, s[16:19], 0 offen       // 0000000253C4: E05C1000 8084281B
	v_mfma_i32_16x16x32_i8 v[120:123], a[18:19], v[82:83], v[120:123]// 0000000253CC: D3D70078 0DE2A512
	v_mfma_i32_16x16x32_i8 v[120:123], a[20:21], v[84:85], v[120:123]// 0000000253D4: D3D70078 0DE2A914
	v_mfma_i32_16x16x32_i8 v[120:123], a[22:23], v[86:87], v[120:123]// 0000000253DC: D3D70078 0DE2AD16
	v_mfma_i32_16x16x32_i8 v[124:127], a[24:25], v[80:81], 0   // 0000000253E4: D3D7007C 0A02A118
	buffer_load_dwordx4 a[44:47], v27, s[16:19], 0 offen offset:1024// 0000000253EC: E05C1400 80842C1B
	v_mfma_i32_16x16x32_i8 v[124:127], a[26:27], v[82:83], v[124:127]// 0000000253F4: D3D7007C 0DF2A51A
	v_mfma_i32_16x16x32_i8 v[124:127], a[28:29], v[84:85], v[124:127]// 0000000253FC: D3D7007C 0DF2A91C
	v_mfma_i32_16x16x32_i8 v[124:127], a[30:31], v[86:87], v[124:127]// 000000025404: D3D7007C 0DF2AD1E
	v_mfma_i32_16x16x32_i8 v[128:131], a[0:1], v[88:89], 0     // 00000002540C: D3D70080 0A02B100
	v_mfma_i32_16x16x32_i8 v[128:131], a[2:3], v[90:91], v[128:131]// 000000025414: D3D70080 0E02B502
	v_mfma_i32_16x16x32_i8 v[128:131], a[4:5], v[92:93], v[128:131]// 00000002541C: D3D70080 0E02B904
	v_mfma_i32_16x16x32_i8 v[128:131], a[6:7], v[94:95], v[128:131]// 000000025424: D3D70080 0E02BD06
	v_mfma_i32_16x16x32_i8 v[132:135], a[8:9], v[88:89], 0     // 00000002542C: D3D70084 0A02B108
	v_mfma_i32_16x16x32_i8 v[132:135], a[10:11], v[90:91], v[132:135]// 000000025434: D3D70084 0E12B50A
	v_mfma_i32_16x16x32_i8 v[132:135], a[12:13], v[92:93], v[132:135]// 00000002543C: D3D70084 0E12B90C
	v_mfma_i32_16x16x32_i8 v[132:135], a[14:15], v[94:95], v[132:135]// 000000025444: D3D70084 0E12BD0E
	v_mfma_i32_16x16x32_i8 v[136:139], a[16:17], v[88:89], 0   // 00000002544C: D3D70088 0A02B110
	v_mfma_i32_16x16x32_i8 v[136:139], a[18:19], v[90:91], v[136:139]// 000000025454: D3D70088 0E22B512
	v_mfma_i32_16x16x32_i8 v[136:139], a[20:21], v[92:93], v[136:139]// 00000002545C: D3D70088 0E22B914
	v_mfma_i32_16x16x32_i8 v[136:139], a[22:23], v[94:95], v[136:139]// 000000025464: D3D70088 0E22BD16
	v_mfma_i32_16x16x32_i8 v[140:143], a[24:25], v[88:89], 0   // 00000002546C: D3D7008C 0A02B118
	v_mfma_i32_16x16x32_i8 v[140:143], a[26:27], v[90:91], v[140:143]// 000000025474: D3D7008C 0E32B51A
	v_mfma_i32_16x16x32_i8 v[140:143], a[28:29], v[92:93], v[140:143]// 00000002547C: D3D7008C 0E32B91C
	v_mfma_i32_16x16x32_i8 v[140:143], a[30:31], v[94:95], v[140:143]// 000000025484: D3D7008C 0E32BD1E
	v_mfma_i32_16x16x32_i8 v[144:147], a[0:1], v[96:97], 0     // 00000002548C: D3D70090 0A02C100
	v_mfma_i32_16x16x32_i8 v[144:147], a[2:3], v[98:99], v[144:147]// 000000025494: D3D70090 0E42C502
	v_mfma_i32_16x16x32_i8 v[144:147], a[4:5], v[100:101], v[144:147]// 00000002549C: D3D70090 0E42C904
	v_mfma_i32_16x16x32_i8 v[144:147], a[6:7], v[102:103], v[144:147]// 0000000254A4: D3D70090 0E42CD06
	v_mfma_i32_16x16x32_i8 v[148:151], a[8:9], v[96:97], 0     // 0000000254AC: D3D70094 0A02C108
	v_mfma_i32_16x16x32_i8 v[148:151], a[10:11], v[98:99], v[148:151]// 0000000254B4: D3D70094 0E52C50A
	v_mfma_i32_16x16x32_i8 v[148:151], a[12:13], v[100:101], v[148:151]// 0000000254BC: D3D70094 0E52C90C
	v_mfma_i32_16x16x32_i8 v[148:151], a[14:15], v[102:103], v[148:151]// 0000000254C4: D3D70094 0E52CD0E
	v_mfma_i32_16x16x32_i8 v[152:155], a[16:17], v[96:97], 0   // 0000000254CC: D3D70098 0A02C110
	v_mfma_i32_16x16x32_i8 v[152:155], a[18:19], v[98:99], v[152:155]// 0000000254D4: D3D70098 0E62C512
	v_mfma_i32_16x16x32_i8 v[152:155], a[20:21], v[100:101], v[152:155]// 0000000254DC: D3D70098 0E62C914
	v_mfma_i32_16x16x32_i8 v[152:155], a[22:23], v[102:103], v[152:155]// 0000000254E4: D3D70098 0E62CD16
	v_mfma_i32_16x16x32_i8 v[156:159], a[24:25], v[96:97], 0   // 0000000254EC: D3D7009C 0A02C118
	v_mfma_i32_16x16x32_i8 v[156:159], a[26:27], v[98:99], v[156:159]// 0000000254F4: D3D7009C 0E72C51A
	v_mfma_i32_16x16x32_i8 v[156:159], a[28:29], v[100:101], v[156:159]// 0000000254FC: D3D7009C 0E72C91C
	v_mfma_i32_16x16x32_i8 v[156:159], a[30:31], v[102:103], v[156:159]// 000000025504: D3D7009C 0E72CD1E
	v_mfma_i32_16x16x32_i8 v[160:163], a[0:1], v[104:105], 0   // 00000002550C: D3D700A0 0A02D100
	v_mfma_i32_16x16x32_i8 v[160:163], a[2:3], v[106:107], v[160:163]// 000000025514: D3D700A0 0E82D502
	v_mfma_i32_16x16x32_i8 v[160:163], a[4:5], v[108:109], v[160:163]// 00000002551C: D3D700A0 0E82D904
	v_mfma_i32_16x16x32_i8 v[160:163], a[6:7], v[110:111], v[160:163]// 000000025524: D3D700A0 0E82DD06
	v_mfma_i32_16x16x32_i8 v[164:167], a[8:9], v[104:105], 0   // 00000002552C: D3D700A4 0A02D108
	v_mfma_i32_16x16x32_i8 v[164:167], a[10:11], v[106:107], v[164:167]// 000000025534: D3D700A4 0E92D50A
	v_mfma_i32_16x16x32_i8 v[164:167], a[12:13], v[108:109], v[164:167]// 00000002553C: D3D700A4 0E92D90C
	v_mfma_i32_16x16x32_i8 v[164:167], a[14:15], v[110:111], v[164:167]// 000000025544: D3D700A4 0E92DD0E
	v_mfma_i32_16x16x32_i8 v[168:171], a[16:17], v[104:105], 0 // 00000002554C: D3D700A8 0A02D110
	v_mfma_i32_16x16x32_i8 v[168:171], a[18:19], v[106:107], v[168:171]// 000000025554: D3D700A8 0EA2D512
	v_mfma_i32_16x16x32_i8 v[168:171], a[20:21], v[108:109], v[168:171]// 00000002555C: D3D700A8 0EA2D914
	v_mfma_i32_16x16x32_i8 v[168:171], a[22:23], v[110:111], v[168:171]// 000000025564: D3D700A8 0EA2DD16
	v_mfma_i32_16x16x32_i8 v[172:175], a[24:25], v[104:105], 0 // 00000002556C: D3D700AC 0A02D118
	v_mfma_i32_16x16x32_i8 v[172:175], a[26:27], v[106:107], v[172:175]// 000000025574: D3D700AC 0EB2D51A
	v_mfma_i32_16x16x32_i8 v[172:175], a[28:29], v[108:109], v[172:175]// 00000002557C: D3D700AC 0EB2D91C
	v_mfma_i32_16x16x32_i8 v[172:175], a[30:31], v[110:111], v[172:175]// 000000025584: D3D700AC 0EB2DD1E
	buffer_load_dword v43, v3, s[32:35], 0 offen               // 00000002558C: E0501000 80082B03
	v_mov_b32_dpp v64, v42 row_shr:4 row_mask:0xf bank_mask:0xf// 000000025594: 7E8002FA FF01142A
	v_mov_b32_dpp v65, v42 row_shl:4 row_mask:0xf bank_mask:0xf// 00000002559C: 7E8202FA FF01042A
	v_cndmask_b32_e64 v248, v42, v64, s[44:45]                 // 0000000255A4: D10000F8 00B2812A
	v_cndmask_b32_e64 v249, v65, v42, s[44:45]                 // 0000000255AC: D10000F9 00B25541
	v_mov_b32_dpp v64, v248 row_shr:8 row_mask:0xf bank_mask:0xf// 0000000255B4: 7E8002FA FF0118F8
	v_mov_b32_dpp v65, v248 row_shl:8 row_mask:0xf bank_mask:0xf// 0000000255BC: 7E8202FA FF0108F8
	v_mov_b32_dpp v66, v249 row_shr:8 row_mask:0xf bank_mask:0xf// 0000000255C4: 7E8402FA FF0118F9
	v_mov_b32_dpp v67, v249 row_shl:8 row_mask:0xf bank_mask:0xf// 0000000255CC: 7E8602FA FF0108F9
	v_mov_b32_e32 v68, v248                                    // 0000000255D4: 7E8803F8
	v_mov_b32_e32 v69, v249                                    // 0000000255D8: 7E8A03F9
	v_cndmask_b32_e64 v248, v68, v64, s[42:43]                 // 0000000255DC: D10000F8 00AA8144
	v_cndmask_b32_e64 v250, v68, v65, s[78:79]                 // 0000000255E4: D10000FA 013A8344
	v_cndmask_b32_e64 v249, v69, v66, s[42:43]                 // 0000000255EC: D10000F9 00AA8545
	v_cndmask_b32_e64 v251, v69, v67, s[78:79]                 // 0000000255F4: D10000FB 013A8745
	v_mov_b32_dpp v64, v57 row_shr:4 row_mask:0xf bank_mask:0xf// 0000000255FC: 7E8002FA FF011439
	v_mov_b32_dpp v65, v57 row_shl:4 row_mask:0xf bank_mask:0xf// 000000025604: 7E8202FA FF010439
	v_cndmask_b32_e64 v252, v57, v64, s[44:45]                 // 00000002560C: D10000FC 00B28139
	v_cndmask_b32_e64 v253, v65, v57, s[44:45]                 // 000000025614: D10000FD 00B27341
	v_mov_b32_dpp v64, v252 row_shr:8 row_mask:0xf bank_mask:0xf// 00000002561C: 7E8002FA FF0118FC
	v_mov_b32_dpp v65, v252 row_shl:8 row_mask:0xf bank_mask:0xf// 000000025624: 7E8202FA FF0108FC
	v_mov_b32_dpp v66, v253 row_shr:8 row_mask:0xf bank_mask:0xf// 00000002562C: 7E8402FA FF0118FD
	v_mov_b32_dpp v67, v253 row_shl:8 row_mask:0xf bank_mask:0xf// 000000025634: 7E8602FA FF0108FD
	v_mov_b32_e32 v68, v252                                    // 00000002563C: 7E8803FC
	v_mov_b32_e32 v69, v253                                    // 000000025640: 7E8A03FD
	v_cndmask_b32_e64 v252, v68, v64, s[42:43]                 // 000000025644: D10000FC 00AA8144
	v_cndmask_b32_e64 v254, v68, v65, s[78:79]                 // 00000002564C: D10000FE 013A8344
	v_cndmask_b32_e64 v253, v69, v66, s[42:43]                 // 000000025654: D10000FD 00AA8545
	v_cndmask_b32_e64 v255, v69, v67, s[78:79]                 // 00000002565C: D10000FF 013A8745
	buffer_load_dword v58, v56, s[36:39], 0 offen              // 000000025664: E0501000 80093A38
	v_cvt_f32_i32_e32 v112, v112                               // 00000002566C: 7EE00B70
	v_cvt_f32_i32_e32 v113, v113                               // 000000025670: 7EE20B71
	v_cvt_f32_i32_e32 v114, v114                               // 000000025674: 7EE40B72
	v_cvt_f32_i32_e32 v115, v115                               // 000000025678: 7EE60B73
	v_cvt_f32_i32_e32 v116, v116                               // 00000002567C: 7EE80B74
	v_cvt_f32_i32_e32 v117, v117                               // 000000025680: 7EEA0B75
	v_cvt_f32_i32_e32 v118, v118                               // 000000025684: 7EEC0B76
	v_cvt_f32_i32_e32 v119, v119                               // 000000025688: 7EEE0B77
	v_cvt_f32_i32_e32 v120, v120                               // 00000002568C: 7EF00B78
	v_cvt_f32_i32_e32 v121, v121                               // 000000025690: 7EF20B79
	v_cvt_f32_i32_e32 v122, v122                               // 000000025694: 7EF40B7A
	v_cvt_f32_i32_e32 v123, v123                               // 000000025698: 7EF60B7B
	v_cvt_f32_i32_e32 v124, v124                               // 00000002569C: 7EF80B7C
	v_cvt_f32_i32_e32 v125, v125                               // 0000000256A0: 7EFA0B7D
	v_cvt_f32_i32_e32 v126, v126                               // 0000000256A4: 7EFC0B7E
	v_cvt_f32_i32_e32 v127, v127                               // 0000000256A8: 7EFE0B7F
	v_mul_f32_e32 v112, v18, v112                              // 0000000256AC: 0AE0E112
	v_mul_f32_e32 v113, v18, v113                              // 0000000256B0: 0AE2E312
	v_mul_f32_e32 v114, v18, v114                              // 0000000256B4: 0AE4E512
	v_mul_f32_e32 v115, v18, v115                              // 0000000256B8: 0AE6E712
	v_mul_f32_e32 v116, v18, v116                              // 0000000256BC: 0AE8E912
	v_mul_f32_e32 v117, v18, v117                              // 0000000256C0: 0AEAEB12
	v_mul_f32_e32 v118, v18, v118                              // 0000000256C4: 0AECED12
	v_mul_f32_e32 v119, v18, v119                              // 0000000256C8: 0AEEEF12
	v_mul_f32_e32 v120, v18, v120                              // 0000000256CC: 0AF0F112
	v_mul_f32_e32 v121, v18, v121                              // 0000000256D0: 0AF2F312
	v_mul_f32_e32 v122, v18, v122                              // 0000000256D4: 0AF4F512
	v_mul_f32_e32 v123, v18, v123                              // 0000000256D8: 0AF6F712
	v_mul_f32_e32 v124, v18, v124                              // 0000000256DC: 0AF8F912
	v_mul_f32_e32 v125, v18, v125                              // 0000000256E0: 0AFAFB12
	v_mul_f32_e32 v126, v18, v126                              // 0000000256E4: 0AFCFD12
	v_mul_f32_e32 v127, v18, v127                              // 0000000256E8: 0AFEFF12
	buffer_load_dwordx4 a[48:51], v28, s[16:19], 0 offen       // 0000000256EC: E05C1000 8084301C
	v_mul_f32_dpp v112, v248, v112 quad_perm:[0,0,0,0] row_mask:0xf bank_mask:0xf// 0000000256F4: 0AE0E0FA FF0000F8
	v_mul_f32_dpp v113, v248, v113 quad_perm:[1,1,1,1] row_mask:0xf bank_mask:0xf// 0000000256FC: 0AE2E2FA FF0055F8
	v_mul_f32_dpp v114, v248, v114 quad_perm:[2,2,2,2] row_mask:0xf bank_mask:0xf// 000000025704: 0AE4E4FA FF00AAF8
	v_mul_f32_dpp v115, v248, v115 quad_perm:[3,3,3,3] row_mask:0xf bank_mask:0xf// 00000002570C: 0AE6E6FA FF00FFF8
	v_mul_f32_dpp v116, v249, v116 quad_perm:[0,0,0,0] row_mask:0xf bank_mask:0xf// 000000025714: 0AE8E8FA FF0000F9
	v_mul_f32_dpp v117, v249, v117 quad_perm:[1,1,1,1] row_mask:0xf bank_mask:0xf// 00000002571C: 0AEAEAFA FF0055F9
	v_mul_f32_dpp v118, v249, v118 quad_perm:[2,2,2,2] row_mask:0xf bank_mask:0xf// 000000025724: 0AECECFA FF00AAF9
	v_mul_f32_dpp v119, v249, v119 quad_perm:[3,3,3,3] row_mask:0xf bank_mask:0xf// 00000002572C: 0AEEEEFA FF00FFF9
	v_mul_f32_dpp v120, v250, v120 quad_perm:[0,0,0,0] row_mask:0xf bank_mask:0xf// 000000025734: 0AF0F0FA FF0000FA
	v_mul_f32_dpp v121, v250, v121 quad_perm:[1,1,1,1] row_mask:0xf bank_mask:0xf// 00000002573C: 0AF2F2FA FF0055FA
	v_mul_f32_dpp v122, v250, v122 quad_perm:[2,2,2,2] row_mask:0xf bank_mask:0xf// 000000025744: 0AF4F4FA FF00AAFA
	v_mul_f32_dpp v123, v250, v123 quad_perm:[3,3,3,3] row_mask:0xf bank_mask:0xf// 00000002574C: 0AF6F6FA FF00FFFA
	v_mul_f32_dpp v124, v251, v124 quad_perm:[0,0,0,0] row_mask:0xf bank_mask:0xf// 000000025754: 0AF8F8FA FF0000FB
	v_mul_f32_dpp v125, v251, v125 quad_perm:[1,1,1,1] row_mask:0xf bank_mask:0xf// 00000002575C: 0AFAFAFA FF0055FB
	v_mul_f32_dpp v126, v251, v126 quad_perm:[2,2,2,2] row_mask:0xf bank_mask:0xf// 000000025764: 0AFCFCFA FF00AAFB
	v_mul_f32_dpp v127, v251, v127 quad_perm:[3,3,3,3] row_mask:0xf bank_mask:0xf// 00000002576C: 0AFEFEFA FF00FFFB
	buffer_load_dwordx4 a[52:55], v28, s[16:19], 0 offen offset:1024// 000000025774: E05C1400 8084341C
	s_cmp_le_i32 s90, s89                                      // 00000002577C: BF05595A
	s_cbranch_scc1 label_8DD2                                  // 000000025780: BF850071
	v_mov_b32_e32 v66, 0xff800000                              // 000000025784: 7E8402FF FF800000
	s_mov_b32 s60, s90                                         // 00000002578C: BEBC005A
	s_add_u32 s61, s89, 0xff                                   // 000000025790: 803DFF59 000000FF
	v_mov_b32_e32 v64, s61                                     // 000000025798: 7E80023D
	v_lshrrev_b32_e32 v240, 4, v0                              // 00000002579C: 21E00084
	v_mul_i32_i24_e32 v240, 4, v240                            // 0000000257A0: 0DE1E084
	v_add_u32_e32 v240, s60, v240                              // 0000000257A4: 69E1E03C
	s_mov_b32 s61, 0                                           // 0000000257A8: BEBD0080
	s_mul_i32 s60, 16, s7                                      // 0000000257AC: 923C0790
	v_sub_u32_e64 v240, v240, s61                              // 0000000257B0: D13500F0 00007BF0
	v_add_u32_e32 v240, s60, v240                              // 0000000257B8: 69E1E03C
	v_add_u32_e32 v241, 1, v240                                // 0000000257BC: 69E3E081
	v_add_u32_e32 v242, 2, v240                                // 0000000257C0: 69E5E082
	v_add_u32_e32 v243, 3, v240                                // 0000000257C4: 69E7E083
	v_cmp_le_u32_e64 s[40:41], v240, v64                       // 0000000257C8: D0CB0028 000281F0
	v_add_u32_e32 v240, 64, v240                               // 0000000257D0: 69E1E0C0
	s_nop 0                                                    // 0000000257D4: BF800000
	v_cndmask_b32_e64 v112, v66, v112, s[40:41]                // 0000000257D8: D1000070 00A2E142
	v_cmp_le_u32_e64 s[40:41], v241, v64                       // 0000000257E0: D0CB0028 000281F1
	v_add_u32_e32 v241, 64, v241                               // 0000000257E8: 69E3E2C0
	s_nop 0                                                    // 0000000257EC: BF800000
	v_cndmask_b32_e64 v113, v66, v113, s[40:41]                // 0000000257F0: D1000071 00A2E342
	v_cmp_le_u32_e64 s[40:41], v242, v64                       // 0000000257F8: D0CB0028 000281F2
	v_add_u32_e32 v242, 64, v242                               // 000000025800: 69E5E4C0
	s_nop 0                                                    // 000000025804: BF800000
	v_cndmask_b32_e64 v114, v66, v114, s[40:41]                // 000000025808: D1000072 00A2E542
	v_cmp_le_u32_e64 s[40:41], v243, v64                       // 000000025810: D0CB0028 000281F3
	v_add_u32_e32 v243, 64, v243                               // 000000025818: 69E7E6C0
	s_nop 0                                                    // 00000002581C: BF800000
	v_cndmask_b32_e64 v115, v66, v115, s[40:41]                // 000000025820: D1000073 00A2E742
	v_cmp_le_u32_e64 s[40:41], v240, v64                       // 000000025828: D0CB0028 000281F0
	v_add_u32_e32 v240, 64, v240                               // 000000025830: 69E1E0C0
	s_nop 0                                                    // 000000025834: BF800000
	v_cndmask_b32_e64 v116, v66, v116, s[40:41]                // 000000025838: D1000074 00A2E942
	v_cmp_le_u32_e64 s[40:41], v241, v64                       // 000000025840: D0CB0028 000281F1
	v_add_u32_e32 v241, 64, v241                               // 000000025848: 69E3E2C0
	s_nop 0                                                    // 00000002584C: BF800000
	v_cndmask_b32_e64 v117, v66, v117, s[40:41]                // 000000025850: D1000075 00A2EB42
	v_cmp_le_u32_e64 s[40:41], v242, v64                       // 000000025858: D0CB0028 000281F2
	v_add_u32_e32 v242, 64, v242                               // 000000025860: 69E5E4C0
	s_nop 0                                                    // 000000025864: BF800000
	v_cndmask_b32_e64 v118, v66, v118, s[40:41]                // 000000025868: D1000076 00A2ED42
	v_cmp_le_u32_e64 s[40:41], v243, v64                       // 000000025870: D0CB0028 000281F3
	v_add_u32_e32 v243, 64, v243                               // 000000025878: 69E7E6C0
	s_nop 0                                                    // 00000002587C: BF800000
	v_cndmask_b32_e64 v119, v66, v119, s[40:41]                // 000000025880: D1000077 00A2EF42
	v_cmp_le_u32_e64 s[40:41], v240, v64                       // 000000025888: D0CB0028 000281F0
	v_add_u32_e32 v240, 64, v240                               // 000000025890: 69E1E0C0
	s_nop 0                                                    // 000000025894: BF800000
	v_cndmask_b32_e64 v120, v66, v120, s[40:41]                // 000000025898: D1000078 00A2F142
	v_cmp_le_u32_e64 s[40:41], v241, v64                       // 0000000258A0: D0CB0028 000281F1
	v_add_u32_e32 v241, 64, v241                               // 0000000258A8: 69E3E2C0
	s_nop 0                                                    // 0000000258AC: BF800000
	v_cndmask_b32_e64 v121, v66, v121, s[40:41]                // 0000000258B0: D1000079 00A2F342
	v_cmp_le_u32_e64 s[40:41], v242, v64                       // 0000000258B8: D0CB0028 000281F2
	v_add_u32_e32 v242, 64, v242                               // 0000000258C0: 69E5E4C0
	s_nop 0                                                    // 0000000258C4: BF800000
	v_cndmask_b32_e64 v122, v66, v122, s[40:41]                // 0000000258C8: D100007A 00A2F542
	v_cmp_le_u32_e64 s[40:41], v243, v64                       // 0000000258D0: D0CB0028 000281F3
	v_add_u32_e32 v243, 64, v243                               // 0000000258D8: 69E7E6C0
	s_nop 0                                                    // 0000000258DC: BF800000
	v_cndmask_b32_e64 v123, v66, v123, s[40:41]                // 0000000258E0: D100007B 00A2F742
	v_cmp_le_u32_e64 s[40:41], v240, v64                       // 0000000258E8: D0CB0028 000281F0
	v_add_u32_e32 v240, 64, v240                               // 0000000258F0: 69E1E0C0
	s_nop 0                                                    // 0000000258F4: BF800000
	v_cndmask_b32_e64 v124, v66, v124, s[40:41]                // 0000000258F8: D100007C 00A2F942
	v_cmp_le_u32_e64 s[40:41], v241, v64                       // 000000025900: D0CB0028 000281F1
	v_add_u32_e32 v241, 64, v241                               // 000000025908: 69E3E2C0
	s_nop 0                                                    // 00000002590C: BF800000
	v_cndmask_b32_e64 v125, v66, v125, s[40:41]                // 000000025910: D100007D 00A2FB42
	v_cmp_le_u32_e64 s[40:41], v242, v64                       // 000000025918: D0CB0028 000281F2
	v_add_u32_e32 v242, 64, v242                               // 000000025920: 69E5E4C0
	s_nop 0                                                    // 000000025924: BF800000
	v_cndmask_b32_e64 v126, v66, v126, s[40:41]                // 000000025928: D100007E 00A2FD42
	v_cmp_le_u32_e64 s[40:41], v243, v64                       // 000000025930: D0CB0028 000281F3
	v_add_u32_e32 v243, 64, v243                               // 000000025938: 69E7E6C0
	s_nop 0                                                    // 00000002593C: BF800000
	v_cndmask_b32_e64 v127, v66, v127, s[40:41]                // 000000025940: D100007F 00A2FF42

0000000000025948 <label_8DD2>:
	v_mov_b32_e32 v48, v112                                    // 000000025948: 7E600370
	v_max3_f32 v48, v112, v113, v48                            // 00000002594C: D1D30030 04C2E370
	v_max3_f32 v48, v114, v115, v48                            // 000000025954: D1D30030 04C2E772
	v_max3_f32 v48, v116, v117, v48                            // 00000002595C: D1D30030 04C2EB74
	v_max3_f32 v48, v118, v119, v48                            // 000000025964: D1D30030 04C2EF76
	v_max3_f32 v48, v120, v121, v48                            // 00000002596C: D1D30030 04C2F378
	v_max3_f32 v48, v122, v123, v48                            // 000000025974: D1D30030 04C2F77A
	v_max3_f32 v48, v124, v125, v48                            // 00000002597C: D1D30030 04C2FB7C
	v_max3_f32 v48, v126, v127, v48                            // 000000025984: D1D30030 04C2FF7E
	ds_write_b32 v8, v48 offset:16896                          // 00000002598C: D81A4200 00003008
	buffer_load_dwordx4 a[56:59], v29, s[16:19], 0 offen       // 000000025994: E05C1000 8084381D
	v_mul_u32_u24_dpp v64, v17, v54 row_newbcast:1 row_mask:0xf bank_mask:0xf// 00000002599C: 10806CFA FF015111
	v_mul_u32_u24_dpp v65, v17, v54 row_newbcast:5 row_mask:0xf bank_mask:0xf// 0000000259A4: 10826CFA FF015511
	v_mul_u32_u24_dpp v66, v17, v54 row_newbcast:9 row_mask:0xf bank_mask:0xf// 0000000259AC: 10846CFA FF015911
	v_mul_u32_u24_dpp v67, v17, v54 row_newbcast:13 row_mask:0xf bank_mask:0xf// 0000000259B4: 10866CFA FF015D11
	v_add_u32_e32 v34, v64, v6                                 // 0000000259BC: 68440D40
	v_add_u32_e32 v35, v65, v6                                 // 0000000259C0: 68460D41
	v_add_u32_e32 v36, v66, v6                                 // 0000000259C4: 68480D42
	v_add_u32_e32 v37, v67, v6                                 // 0000000259C8: 684A0D43
	v_mul_f32_e32 v208, v49, v208                              // 0000000259CC: 0BA1A131
	v_mul_f32_e32 v209, v49, v209                              // 0000000259D0: 0BA3A331
	v_mul_f32_e32 v210, v49, v210                              // 0000000259D4: 0BA5A531
	v_mul_f32_e32 v211, v49, v211                              // 0000000259D8: 0BA7A731
	v_mul_f32_e32 v212, v49, v212                              // 0000000259DC: 0BA9A931
	v_mul_f32_e32 v213, v49, v213                              // 0000000259E0: 0BABAB31
	v_mul_f32_e32 v214, v49, v214                              // 0000000259E4: 0BADAD31
	v_mul_f32_e32 v215, v49, v215                              // 0000000259E8: 0BAFAF31
	s_waitcnt lgkmcnt(0)                                       // 0000000259EC: BF8CC07F
	s_barrier                                                  // 0000000259F0: BF8A0000
	ds_read_b32 v64, v7 offset:16896                           // 0000000259F4: D86C4200 40000007
	ds_read_b32 v65, v7 offset:16960                           // 0000000259FC: D86C4240 41000007
	ds_read_b32 v66, v7 offset:17024                           // 000000025A04: D86C4280 42000007
	ds_read_b32 v67, v7 offset:17088                           // 000000025A0C: D86C42C0 43000007
	ds_read_b32 v68, v7 offset:17152                           // 000000025A14: D86C4300 44000007
	ds_read_b32 v69, v7 offset:17216                           // 000000025A1C: D86C4340 45000007
	ds_read_b32 v70, v7 offset:17280                           // 000000025A24: D86C4380 46000007
	ds_read_b32 v71, v7 offset:17344                           // 000000025A2C: D86C43C0 47000007
	ds_read_b32 v72, v7 offset:17408                           // 000000025A34: D86C4400 48000007
	ds_read_b32 v73, v7 offset:17472                           // 000000025A3C: D86C4440 49000007
	ds_read_b32 v74, v7 offset:17536                           // 000000025A44: D86C4480 4A000007
	ds_read_b32 v75, v7 offset:17600                           // 000000025A4C: D86C44C0 4B000007
	ds_read_b32 v76, v7 offset:17664                           // 000000025A54: D86C4500 4C000007
	ds_read_b32 v77, v7 offset:17728                           // 000000025A5C: D86C4540 4D000007
	ds_read_b32 v78, v7 offset:17792                           // 000000025A64: D86C4580 4E000007
	ds_read_b32 v79, v7 offset:17856                           // 000000025A6C: D86C45C0 4F000007
	buffer_load_dwordx4 a[60:63], v29, s[16:19], 0 offen offset:1024// 000000025A74: E05C1400 80843C1D
	v_cvt_f32_i32_e32 v176, v176                               // 000000025A7C: 7F600BB0
	v_cvt_f32_i32_e32 v177, v177                               // 000000025A80: 7F620BB1
	v_cvt_f32_i32_e32 v178, v178                               // 000000025A84: 7F640BB2
	v_cvt_f32_i32_e32 v179, v179                               // 000000025A88: 7F660BB3
	v_cvt_f32_i32_e32 v180, v180                               // 000000025A8C: 7F680BB4
	v_cvt_f32_i32_e32 v181, v181                               // 000000025A90: 7F6A0BB5
	v_cvt_f32_i32_e32 v182, v182                               // 000000025A94: 7F6C0BB6
	v_cvt_f32_i32_e32 v183, v183                               // 000000025A98: 7F6E0BB7
	v_mul_f32_e32 v176, v44, v176                              // 000000025A9C: 0B61612C
	v_mul_f32_e32 v177, v44, v177                              // 000000025AA0: 0B63632C
	v_mul_f32_e32 v178, v44, v178                              // 000000025AA4: 0B65652C
	v_mul_f32_e32 v179, v44, v179                              // 000000025AA8: 0B67672C
	v_mul_f32_e32 v180, v44, v180                              // 000000025AAC: 0B69692C
	v_mul_f32_e32 v181, v44, v181                              // 000000025AB0: 0B6B6B2C
	v_mul_f32_e32 v182, v44, v182                              // 000000025AB4: 0B6D6D2C
	v_mul_f32_e32 v183, v44, v183                              // 000000025AB8: 0B6F6F2C
	s_waitcnt lgkmcnt(0)                                       // 000000025ABC: BF8CC07F
	v_max3_f32 v48, v64, v65, v48                              // 000000025AC0: D1D30030 04C28340
	v_max3_f32 v48, v66, v67, v48                              // 000000025AC8: D1D30030 04C28742
	v_max3_f32 v48, v68, v69, v48                              // 000000025AD0: D1D30030 04C28B44
	v_max3_f32 v48, v70, v71, v48                              // 000000025AD8: D1D30030 04C28F46
	v_max3_f32 v48, v72, v73, v48                              // 000000025AE0: D1D30030 04C29348
	v_max3_f32 v48, v74, v75, v48                              // 000000025AE8: D1D30030 04C2974A
	v_max3_f32 v48, v76, v77, v48                              // 000000025AF0: D1D30030 04C29B4C
	v_max3_f32 v48, v78, v79, v48                              // 000000025AF8: D1D30030 04C29F4E
	buffer_load_dwordx4 a[96:99], v34, s[20:23], 0 offen       // 000000025B00: E05C1000 80856022
	v_mov_b32_e32 v64, 0xff800000                              // 000000025B08: 7E8002FF FF800000
	v_cmp_eq_u32_e64 s[40:41], v64, v11                        // 000000025B10: D0CA0028 00021740
	s_nop 1                                                    // 000000025B18: BF800001
	v_max_f32_e32 v15, v48, v11                                // 000000025B1C: 161E1730
	v_mul_f32_e32 v53, s64, v15                                // 000000025B20: 0A6A1E40
	v_fma_f32 v112, v112, s64, -v53                            // 000000025B24: D1CB0070 84D48170
	v_fma_f32 v113, v113, s64, -v53                            // 000000025B2C: D1CB0071 84D48171
	v_fma_f32 v114, v114, s64, -v53                            // 000000025B34: D1CB0072 84D48172
	v_fma_f32 v115, v115, s64, -v53                            // 000000025B3C: D1CB0073 84D48173
	v_fma_f32 v116, v116, s64, -v53                            // 000000025B44: D1CB0074 84D48174
	v_fma_f32 v117, v117, s64, -v53                            // 000000025B4C: D1CB0075 84D48175
	v_fma_f32 v118, v118, s64, -v53                            // 000000025B54: D1CB0076 84D48176
	v_fma_f32 v119, v119, s64, -v53                            // 000000025B5C: D1CB0077 84D48177
	v_fma_f32 v120, v120, s64, -v53                            // 000000025B64: D1CB0078 84D48178
	v_fma_f32 v121, v121, s64, -v53                            // 000000025B6C: D1CB0079 84D48179
	v_fma_f32 v122, v122, s64, -v53                            // 000000025B74: D1CB007A 84D4817A
	v_fma_f32 v123, v123, s64, -v53                            // 000000025B7C: D1CB007B 84D4817B
	v_fma_f32 v124, v124, s64, -v53                            // 000000025B84: D1CB007C 84D4817C
	v_fma_f32 v125, v125, s64, -v53                            // 000000025B8C: D1CB007D 84D4817D
	v_fma_f32 v126, v126, s64, -v53                            // 000000025B94: D1CB007E 84D4817E
	v_fma_f32 v127, v127, s64, -v53                            // 000000025B9C: D1CB007F 84D4817F
	buffer_load_dwordx4 a[100:103], v35, s[20:23], 0 offen     // 000000025BA4: E05C1000 80856423
	v_exp_f32_e32 v112, v112                                   // 000000025BAC: 7EE04170
	v_exp_f32_e32 v113, v113                                   // 000000025BB0: 7EE24171
	v_exp_f32_e32 v114, v114                                   // 000000025BB4: 7EE44172
	v_exp_f32_e32 v115, v115                                   // 000000025BB8: 7EE64173
	v_exp_f32_e32 v116, v116                                   // 000000025BBC: 7EE84174
	v_exp_f32_e32 v117, v117                                   // 000000025BC0: 7EEA4175
	v_exp_f32_e32 v118, v118                                   // 000000025BC4: 7EEC4176
	v_exp_f32_e32 v119, v119                                   // 000000025BC8: 7EEE4177
	v_exp_f32_e32 v120, v120                                   // 000000025BCC: 7EF04178
	v_exp_f32_e32 v121, v121                                   // 000000025BD0: 7EF24179
	v_exp_f32_e32 v122, v122                                   // 000000025BD4: 7EF4417A
	v_exp_f32_e32 v123, v123                                   // 000000025BD8: 7EF6417B
	v_exp_f32_e32 v124, v124                                   // 000000025BDC: 7EF8417C
	v_exp_f32_e32 v125, v125                                   // 000000025BE0: 7EFA417D
	v_exp_f32_e32 v126, v126                                   // 000000025BE4: 7EFC417E
	v_exp_f32_e32 v127, v127                                   // 000000025BE8: 7EFE417F
	buffer_load_dwordx4 a[104:107], v36, s[20:23], 0 offen     // 000000025BEC: E05C1000 80856824
	v_mul_f32_dpp v240, v252, v112 quad_perm:[0,0,0,0] row_mask:0xf bank_mask:0xf// 000000025BF4: 0BE0E0FA FF0000FC
	v_mul_f32_dpp v241, v252, v113 quad_perm:[1,1,1,1] row_mask:0xf bank_mask:0xf// 000000025BFC: 0BE2E2FA FF0055FC
	v_mul_f32_dpp v242, v252, v114 quad_perm:[2,2,2,2] row_mask:0xf bank_mask:0xf// 000000025C04: 0BE4E4FA FF00AAFC
	v_mul_f32_dpp v243, v252, v115 quad_perm:[3,3,3,3] row_mask:0xf bank_mask:0xf// 000000025C0C: 0BE6E6FA FF00FFFC
	v_mul_f32_dpp v244, v253, v116 quad_perm:[0,0,0,0] row_mask:0xf bank_mask:0xf// 000000025C14: 0BE8E8FA FF0000FD
	v_mul_f32_dpp v245, v253, v117 quad_perm:[1,1,1,1] row_mask:0xf bank_mask:0xf// 000000025C1C: 0BEAEAFA FF0055FD
	v_mul_f32_dpp v246, v253, v118 quad_perm:[2,2,2,2] row_mask:0xf bank_mask:0xf// 000000025C24: 0BECECFA FF00AAFD
	v_mul_f32_dpp v247, v253, v119 quad_perm:[3,3,3,3] row_mask:0xf bank_mask:0xf// 000000025C2C: 0BEEEEFA FF00FFFD
	v_mul_f32_dpp v248, v254, v120 quad_perm:[0,0,0,0] row_mask:0xf bank_mask:0xf// 000000025C34: 0BF0F0FA FF0000FE
	v_mul_f32_dpp v249, v254, v121 quad_perm:[1,1,1,1] row_mask:0xf bank_mask:0xf// 000000025C3C: 0BF2F2FA FF0055FE
	v_mul_f32_dpp v250, v254, v122 quad_perm:[2,2,2,2] row_mask:0xf bank_mask:0xf// 000000025C44: 0BF4F4FA FF00AAFE
	v_mul_f32_dpp v251, v254, v123 quad_perm:[3,3,3,3] row_mask:0xf bank_mask:0xf// 000000025C4C: 0BF6F6FA FF00FFFE
	v_mul_f32_dpp v252, v255, v124 quad_perm:[0,0,0,0] row_mask:0xf bank_mask:0xf// 000000025C54: 0BF8F8FA FF0000FF
	v_mul_f32_dpp v253, v255, v125 quad_perm:[1,1,1,1] row_mask:0xf bank_mask:0xf// 000000025C5C: 0BFAFAFA FF0055FF
	v_mul_f32_dpp v254, v255, v126 quad_perm:[2,2,2,2] row_mask:0xf bank_mask:0xf// 000000025C64: 0BFCFCFA FF00AAFF
	v_mul_f32_dpp v255, v255, v127 quad_perm:[3,3,3,3] row_mask:0xf bank_mask:0xf// 000000025C6C: 0BFEFEFA FF00FFFF
	v_mov_b32_e32 v48, 0x358637bd                              // 000000025C74: 7E6002FF 358637BD
	v_max3_f32 v48, |v240|, |v241|, v48                        // 000000025C7C: D1D30330 04C3E3F0
	v_max3_f32 v48, |v242|, |v243|, v48                        // 000000025C84: D1D30330 04C3E7F2
	v_max3_f32 v48, |v244|, |v245|, v48                        // 000000025C8C: D1D30330 04C3EBF4
	v_max3_f32 v48, |v246|, |v247|, v48                        // 000000025C94: D1D30330 04C3EFF6
	v_max3_f32 v48, |v248|, |v249|, v48                        // 000000025C9C: D1D30330 04C3F3F8
	v_max3_f32 v48, |v250|, |v251|, v48                        // 000000025CA4: D1D30330 04C3F7FA
	v_max3_f32 v48, |v252|, |v253|, v48                        // 000000025CAC: D1D30330 04C3FBFC
	v_max3_f32 v48, |v254|, |v255|, v48                        // 000000025CB4: D1D30330 04C3FFFE
	buffer_load_dwordx4 a[108:111], v37, s[20:23], 0 offen     // 000000025CBC: E05C1000 80856C25
	ds_write_b32 v8, v48 offset:20992                          // 000000025CC4: D81A5200 00003008
	v_sub_f32_e32 v49, v11, v15                                // 000000025CCC: 04621F0B
	v_cndmask_b32_e64 v49, v49, 0, s[40:41]                    // 000000025CD0: D1000031 00A10131
	v_mov_b32_e32 v11, v15                                     // 000000025CD8: 7E16030F
	v_mul_f32_e32 v49, s64, v49                                // 000000025CDC: 0A626240
	v_exp_f32_e32 v49, v49                                     // 000000025CE0: 7E624131
	s_waitcnt lgkmcnt(0)                                       // 000000025CE4: BF8CC07F
	s_barrier                                                  // 000000025CE8: BF8A0000
	ds_read_b32 v64, v7 offset:20992                           // 000000025CEC: D86C5200 40000007
	ds_read_b32 v65, v7 offset:21056                           // 000000025CF4: D86C5240 41000007
	ds_read_b32 v66, v7 offset:21120                           // 000000025CFC: D86C5280 42000007
	ds_read_b32 v67, v7 offset:21184                           // 000000025D04: D86C52C0 43000007
	ds_read_b32 v68, v7 offset:21248                           // 000000025D0C: D86C5300 44000007
	ds_read_b32 v69, v7 offset:21312                           // 000000025D14: D86C5340 45000007
	ds_read_b32 v70, v7 offset:21376                           // 000000025D1C: D86C5380 46000007
	ds_read_b32 v71, v7 offset:21440                           // 000000025D24: D86C53C0 47000007
	ds_read_b32 v72, v7 offset:21504                           // 000000025D2C: D86C5400 48000007
	ds_read_b32 v73, v7 offset:21568                           // 000000025D34: D86C5440 49000007
	ds_read_b32 v74, v7 offset:21632                           // 000000025D3C: D86C5480 4A000007
	ds_read_b32 v75, v7 offset:21696                           // 000000025D44: D86C54C0 4B000007
	ds_read_b32 v76, v7 offset:21760                           // 000000025D4C: D86C5500 4C000007
	ds_read_b32 v77, v7 offset:21824                           // 000000025D54: D86C5540 4D000007
	ds_read_b32 v78, v7 offset:21888                           // 000000025D5C: D86C5580 4E000007
	ds_read_b32 v79, v7 offset:21952                           // 000000025D64: D86C55C0 4F000007
	v_mul_f32_e32 v38, v49, v38                                // 000000025D6C: 0A4C4D31
	v_mov_b32_e32 v15, v112                                    // 000000025D70: 7E1E0370
	v_add_f32_e32 v15, v113, v15                               // 000000025D74: 021E1F71
	v_add_f32_e32 v15, v114, v15                               // 000000025D78: 021E1F72
	v_add_f32_e32 v15, v115, v15                               // 000000025D7C: 021E1F73
	v_add_f32_e32 v15, v116, v15                               // 000000025D80: 021E1F74
	v_add_f32_e32 v15, v117, v15                               // 000000025D84: 021E1F75
	v_add_f32_e32 v15, v118, v15                               // 000000025D88: 021E1F76
	v_add_f32_e32 v15, v119, v15                               // 000000025D8C: 021E1F77
	v_add_f32_e32 v15, v120, v15                               // 000000025D90: 021E1F78
	v_add_f32_e32 v15, v121, v15                               // 000000025D94: 021E1F79
	v_add_f32_e32 v15, v122, v15                               // 000000025D98: 021E1F7A
	v_add_f32_e32 v15, v123, v15                               // 000000025D9C: 021E1F7B
	v_add_f32_e32 v15, v124, v15                               // 000000025DA0: 021E1F7C
	v_add_f32_e32 v15, v125, v15                               // 000000025DA4: 021E1F7D
	v_add_f32_e32 v15, v126, v15                               // 000000025DA8: 021E1F7E
	v_add_f32_e32 v15, v127, v15                               // 000000025DAC: 021E1F7F
	v_add_f32_e32 v38, v15, v38                                // 000000025DB0: 024C4D0F
	s_waitcnt lgkmcnt(0)                                       // 000000025DB4: BF8CC07F
	v_max3_f32 v48, |v64|, |v65|, v48                          // 000000025DB8: D1D30330 04C28340
	v_max3_f32 v48, |v66|, |v67|, v48                          // 000000025DC0: D1D30330 04C28742
	v_max3_f32 v48, |v68|, |v69|, v48                          // 000000025DC8: D1D30330 04C28B44
	v_max3_f32 v48, |v70|, |v71|, v48                          // 000000025DD0: D1D30330 04C28F46
	v_max3_f32 v48, |v72|, |v73|, v48                          // 000000025DD8: D1D30330 04C29348
	v_max3_f32 v48, |v74|, |v75|, v48                          // 000000025DE0: D1D30330 04C2974A
	v_max3_f32 v48, |v76|, |v77|, v48                          // 000000025DE8: D1D30330 04C29B4C
	v_max3_f32 v48, |v78|, |v79|, v48                          // 000000025DF0: D1D30330 04C29F4E
	s_nop 2                                                    // 000000025DF8: BF800002
	v_rcp_f32_e32 v48, v48                                     // 000000025DFC: 7E604530
	s_nop 1                                                    // 000000025E00: BF800001
	v_mul_f32_e32 v48, 0x42fe0000, v48                         // 000000025E04: 0A6060FF 42FE0000
	v_mul_f32_e32 v112, v48, v240                              // 000000025E0C: 0AE1E130
	v_mul_f32_e32 v113, v48, v241                              // 000000025E10: 0AE3E330
	v_mul_f32_e32 v114, v48, v242                              // 000000025E14: 0AE5E530
	v_mul_f32_e32 v115, v48, v243                              // 000000025E18: 0AE7E730
	v_mul_f32_e32 v116, v48, v244                              // 000000025E1C: 0AE9E930
	v_mul_f32_e32 v117, v48, v245                              // 000000025E20: 0AEBEB30
	v_mul_f32_e32 v118, v48, v246                              // 000000025E24: 0AEDED30
	v_mul_f32_e32 v119, v48, v247                              // 000000025E28: 0AEFEF30
	v_mul_f32_e32 v120, v48, v248                              // 000000025E2C: 0AF1F130
	v_mul_f32_e32 v121, v48, v249                              // 000000025E30: 0AF3F330
	v_mul_f32_e32 v122, v48, v250                              // 000000025E34: 0AF5F530
	v_mul_f32_e32 v123, v48, v251                              // 000000025E38: 0AF7F730
	v_mul_f32_e32 v124, v48, v252                              // 000000025E3C: 0AF9F930
	v_mul_f32_e32 v125, v48, v253                              // 000000025E40: 0AFBFB30
	v_mul_f32_e32 v126, v48, v254                              // 000000025E44: 0AFDFD30
	v_mul_f32_e32 v127, v48, v255                              // 000000025E48: 0AFFFF30
	v_cvt_i32_f32_e32 v112, v112                               // 000000025E4C: 7EE01170
	v_cvt_i32_f32_e32 v113, v113                               // 000000025E50: 7EE21171
	v_cvt_i32_f32_e32 v114, v114                               // 000000025E54: 7EE41172
	v_cvt_i32_f32_e32 v115, v115                               // 000000025E58: 7EE61173
	v_cvt_i32_f32_e32 v116, v116                               // 000000025E5C: 7EE81174
	v_cvt_i32_f32_e32 v117, v117                               // 000000025E60: 7EEA1175
	v_cvt_i32_f32_e32 v118, v118                               // 000000025E64: 7EEC1176
	v_cvt_i32_f32_e32 v119, v119                               // 000000025E68: 7EEE1177
	v_cvt_i32_f32_e32 v120, v120                               // 000000025E6C: 7EF01178
	v_cvt_i32_f32_e32 v121, v121                               // 000000025E70: 7EF21179
	v_cvt_i32_f32_e32 v122, v122                               // 000000025E74: 7EF4117A
	v_cvt_i32_f32_e32 v123, v123                               // 000000025E78: 7EF6117B
	v_cvt_i32_f32_e32 v124, v124                               // 000000025E7C: 7EF8117C
	v_cvt_i32_f32_e32 v125, v125                               // 000000025E80: 7EFA117D
	v_cvt_i32_f32_e32 v126, v126                               // 000000025E84: 7EFC117E
	v_cvt_i32_f32_e32 v127, v127                               // 000000025E88: 7EFE117F
	v_perm_b32 v112, v113, v112, s53                           // 000000025E8C: D1ED0070 00D6E171
	v_perm_b32 v112, v114, v112, s54                           // 000000025E94: D1ED0070 00DAE172
	v_perm_b32 v112, v115, v112, s55                           // 000000025E9C: D1ED0070 00DEE173
	v_perm_b32 v113, v117, v116, s53                           // 000000025EA4: D1ED0071 00D6E975
	v_perm_b32 v113, v118, v113, s54                           // 000000025EAC: D1ED0071 00DAE376
	v_perm_b32 v113, v119, v113, s55                           // 000000025EB4: D1ED0071 00DEE377
	v_perm_b32 v114, v121, v120, s53                           // 000000025EBC: D1ED0072 00D6F179
	v_perm_b32 v114, v122, v114, s54                           // 000000025EC4: D1ED0072 00DAE57A
	v_perm_b32 v114, v123, v114, s55                           // 000000025ECC: D1ED0072 00DEE57B
	v_perm_b32 v115, v125, v124, s53                           // 000000025ED4: D1ED0073 00D6F97D
	v_perm_b32 v115, v126, v115, s54                           // 000000025EDC: D1ED0073 00DAE77E
	v_perm_b32 v115, v127, v115, s55                           // 000000025EE4: D1ED0073 00DEE77F
	ds_write_b32 v10, v112 offset:25088                        // 000000025EEC: D81A6200 0000700A
	ds_write_b32 v10, v113 offset:26112                        // 000000025EF4: D81A6600 0000710A
	ds_write_b32 v10, v114 offset:27136                        // 000000025EFC: D81A6A00 0000720A
	ds_write_b32 v10, v115 offset:28160                        // 000000025F04: D81A6E00 0000730A
	v_add_f32_e32 v208, v208, v176                             // 000000025F0C: 03A161D0
	v_add_f32_e32 v209, v209, v177                             // 000000025F10: 03A363D1
	v_add_f32_e32 v210, v210, v178                             // 000000025F14: 03A565D2
	v_add_f32_e32 v211, v211, v179                             // 000000025F18: 03A767D3
	v_add_f32_e32 v212, v212, v180                             // 000000025F1C: 03A969D4
	v_add_f32_e32 v213, v213, v181                             // 000000025F20: 03AB6BD5
	v_add_f32_e32 v214, v214, v182                             // 000000025F24: 03AD6DD6
	v_add_f32_e32 v215, v215, v183                             // 000000025F28: 03AF6FD7
	v_rcp_f32_e32 v44, v48                                     // 000000025F2C: 7E584530
	s_waitcnt lgkmcnt(0)                                       // 000000025F30: BF8CC07F
	s_barrier                                                  // 000000025F34: BF8A0000
	ds_read_b64 v[112:113], v9 offset:25088                    // 000000025F38: D8EC6200 70000009
	ds_read_b64 v[114:115], v9 offset:25216                    // 000000025F40: D8EC6280 72000009
	ds_read_b64 v[116:117], v9 offset:26112                    // 000000025F48: D8EC6600 74000009
	ds_read_b64 v[118:119], v9 offset:26240                    // 000000025F50: D8EC6680 76000009
	ds_read_b64 v[120:121], v9 offset:27136                    // 000000025F58: D8EC6A00 78000009
	ds_read_b64 v[122:123], v9 offset:27264                    // 000000025F60: D8EC6A80 7A000009
	ds_read_b64 v[124:125], v9 offset:28160                    // 000000025F68: D8EC6E00 7C000009
	ds_read_b64 v[126:127], v9 offset:28288                    // 000000025F70: D8EC6E80 7E000009
	v_mov_b32_dpp v64, v42 row_shr:4 row_mask:0xf bank_mask:0xf// 000000025F78: 7E8002FA FF01142A
	v_mov_b32_dpp v65, v42 row_shl:4 row_mask:0xf bank_mask:0xf// 000000025F80: 7E8202FA FF01042A
	v_cndmask_b32_e64 v248, v42, v64, s[44:45]                 // 000000025F88: D10000F8 00B2812A
	v_cndmask_b32_e64 v249, v65, v42, s[44:45]                 // 000000025F90: D10000F9 00B25541
	v_mov_b32_dpp v64, v248 row_shr:8 row_mask:0xf bank_mask:0xf// 000000025F98: 7E8002FA FF0118F8
	v_mov_b32_dpp v65, v248 row_shl:8 row_mask:0xf bank_mask:0xf// 000000025FA0: 7E8202FA FF0108F8
	v_mov_b32_dpp v66, v249 row_shr:8 row_mask:0xf bank_mask:0xf// 000000025FA8: 7E8402FA FF0118F9
	v_mov_b32_dpp v67, v249 row_shl:8 row_mask:0xf bank_mask:0xf// 000000025FB0: 7E8602FA FF0108F9
	v_mov_b32_e32 v68, v248                                    // 000000025FB8: 7E8803F8
	v_mov_b32_e32 v69, v249                                    // 000000025FBC: 7E8A03F9
	v_cndmask_b32_e64 v248, v68, v64, s[42:43]                 // 000000025FC0: D10000F8 00AA8144
	v_cndmask_b32_e64 v250, v68, v65, s[78:79]                 // 000000025FC8: D10000FA 013A8344
	v_cndmask_b32_e64 v249, v69, v66, s[42:43]                 // 000000025FD0: D10000F9 00AA8545
	v_cndmask_b32_e64 v251, v69, v67, s[78:79]                 // 000000025FD8: D10000FB 013A8745
	v_mov_b32_dpp v64, v57 row_shr:4 row_mask:0xf bank_mask:0xf// 000000025FE0: 7E8002FA FF011439
	v_mov_b32_dpp v65, v57 row_shl:4 row_mask:0xf bank_mask:0xf// 000000025FE8: 7E8202FA FF010439
	v_cndmask_b32_e64 v252, v57, v64, s[44:45]                 // 000000025FF0: D10000FC 00B28139
	v_cndmask_b32_e64 v253, v65, v57, s[44:45]                 // 000000025FF8: D10000FD 00B27341
	v_mov_b32_dpp v64, v252 row_shr:8 row_mask:0xf bank_mask:0xf// 000000026000: 7E8002FA FF0118FC
	v_mov_b32_dpp v65, v252 row_shl:8 row_mask:0xf bank_mask:0xf// 000000026008: 7E8202FA FF0108FC
	v_mov_b32_dpp v66, v253 row_shr:8 row_mask:0xf bank_mask:0xf// 000000026010: 7E8402FA FF0118FD
	v_mov_b32_dpp v67, v253 row_shl:8 row_mask:0xf bank_mask:0xf// 000000026018: 7E8602FA FF0108FD
	v_mov_b32_e32 v68, v252                                    // 000000026020: 7E8803FC
	v_mov_b32_e32 v69, v253                                    // 000000026024: 7E8A03FD
	v_cndmask_b32_e64 v252, v68, v64, s[42:43]                 // 000000026028: D10000FC 00AA8144
	v_cndmask_b32_e64 v254, v68, v65, s[78:79]                 // 000000026030: D10000FE 013A8344
	v_cndmask_b32_e64 v253, v69, v66, s[42:43]                 // 000000026038: D10000FD 00AA8545
	v_cndmask_b32_e64 v255, v69, v67, s[78:79]                 // 000000026040: D10000FF 013A8745
	v_cvt_f32_i32_e32 v128, v128                               // 000000026048: 7F000B80
	v_cvt_f32_i32_e32 v129, v129                               // 00000002604C: 7F020B81
	v_cvt_f32_i32_e32 v130, v130                               // 000000026050: 7F040B82
	v_cvt_f32_i32_e32 v131, v131                               // 000000026054: 7F060B83
	v_cvt_f32_i32_e32 v132, v132                               // 000000026058: 7F080B84
	v_cvt_f32_i32_e32 v133, v133                               // 00000002605C: 7F0A0B85
	v_cvt_f32_i32_e32 v134, v134                               // 000000026060: 7F0C0B86
	v_cvt_f32_i32_e32 v135, v135                               // 000000026064: 7F0E0B87
	v_cvt_f32_i32_e32 v136, v136                               // 000000026068: 7F100B88
	v_cvt_f32_i32_e32 v137, v137                               // 00000002606C: 7F120B89
	v_cvt_f32_i32_e32 v138, v138                               // 000000026070: 7F140B8A
	v_cvt_f32_i32_e32 v139, v139                               // 000000026074: 7F160B8B
	v_cvt_f32_i32_e32 v140, v140                               // 000000026078: 7F180B8C
	v_cvt_f32_i32_e32 v141, v141                               // 00000002607C: 7F1A0B8D
	v_cvt_f32_i32_e32 v142, v142                               // 000000026080: 7F1C0B8E
	v_cvt_f32_i32_e32 v143, v143                               // 000000026084: 7F1E0B8F
	v_mul_f32_e32 v128, v19, v128                              // 000000026088: 0B010113
	v_mul_f32_e32 v129, v19, v129                              // 00000002608C: 0B030313
	v_mul_f32_e32 v130, v19, v130                              // 000000026090: 0B050513
	v_mul_f32_e32 v131, v19, v131                              // 000000026094: 0B070713
	v_mul_f32_e32 v132, v19, v132                              // 000000026098: 0B090913
	v_mul_f32_e32 v133, v19, v133                              // 00000002609C: 0B0B0B13
	v_mul_f32_e32 v134, v19, v134                              // 0000000260A0: 0B0D0D13
	v_mul_f32_e32 v135, v19, v135                              // 0000000260A4: 0B0F0F13
	v_mul_f32_e32 v136, v19, v136                              // 0000000260A8: 0B111113
	v_mul_f32_e32 v137, v19, v137                              // 0000000260AC: 0B131313
	v_mul_f32_e32 v138, v19, v138                              // 0000000260B0: 0B151513
	v_mul_f32_e32 v139, v19, v139                              // 0000000260B4: 0B171713
	v_mul_f32_e32 v140, v19, v140                              // 0000000260B8: 0B191913
	v_mul_f32_e32 v141, v19, v141                              // 0000000260BC: 0B1B1B13
	v_mul_f32_e32 v142, v19, v142                              // 0000000260C0: 0B1D1D13
	v_mul_f32_e32 v143, v19, v143                              // 0000000260C4: 0B1F1F13
	v_mul_f32_dpp v128, v248, v128 quad_perm:[0,0,0,0] row_mask:0xf bank_mask:0xf// 0000000260C8: 0B0100FA FF0000F8
	v_mul_f32_dpp v129, v248, v129 quad_perm:[1,1,1,1] row_mask:0xf bank_mask:0xf// 0000000260D0: 0B0302FA FF0055F8
	v_mul_f32_dpp v130, v248, v130 quad_perm:[2,2,2,2] row_mask:0xf bank_mask:0xf// 0000000260D8: 0B0504FA FF00AAF8
	v_mul_f32_dpp v131, v248, v131 quad_perm:[3,3,3,3] row_mask:0xf bank_mask:0xf// 0000000260E0: 0B0706FA FF00FFF8
	v_mul_f32_dpp v132, v249, v132 quad_perm:[0,0,0,0] row_mask:0xf bank_mask:0xf// 0000000260E8: 0B0908FA FF0000F9
	v_mul_f32_dpp v133, v249, v133 quad_perm:[1,1,1,1] row_mask:0xf bank_mask:0xf// 0000000260F0: 0B0B0AFA FF0055F9
	v_mul_f32_dpp v134, v249, v134 quad_perm:[2,2,2,2] row_mask:0xf bank_mask:0xf// 0000000260F8: 0B0D0CFA FF00AAF9
	v_mul_f32_dpp v135, v249, v135 quad_perm:[3,3,3,3] row_mask:0xf bank_mask:0xf// 000000026100: 0B0F0EFA FF00FFF9
	v_mul_f32_dpp v136, v250, v136 quad_perm:[0,0,0,0] row_mask:0xf bank_mask:0xf// 000000026108: 0B1110FA FF0000FA
	v_mul_f32_dpp v137, v250, v137 quad_perm:[1,1,1,1] row_mask:0xf bank_mask:0xf// 000000026110: 0B1312FA FF0055FA
	v_mul_f32_dpp v138, v250, v138 quad_perm:[2,2,2,2] row_mask:0xf bank_mask:0xf// 000000026118: 0B1514FA FF00AAFA
	v_mul_f32_dpp v139, v250, v139 quad_perm:[3,3,3,3] row_mask:0xf bank_mask:0xf// 000000026120: 0B1716FA FF00FFFA
	v_mul_f32_dpp v140, v251, v140 quad_perm:[0,0,0,0] row_mask:0xf bank_mask:0xf// 000000026128: 0B1918FA FF0000FB
	v_mul_f32_dpp v141, v251, v141 quad_perm:[1,1,1,1] row_mask:0xf bank_mask:0xf// 000000026130: 0B1B1AFA FF0055FB
	v_mul_f32_dpp v142, v251, v142 quad_perm:[2,2,2,2] row_mask:0xf bank_mask:0xf// 000000026138: 0B1D1CFA FF00AAFB
	v_mul_f32_dpp v143, v251, v143 quad_perm:[3,3,3,3] row_mask:0xf bank_mask:0xf// 000000026140: 0B1F1EFA FF00FFFB
	s_cmp_le_i32 s90, s89                                      // 000000026148: BF05595A
	s_cbranch_scc1 label_9045                                  // 00000002614C: BF850071
	v_mov_b32_e32 v66, 0xff800000                              // 000000026150: 7E8402FF FF800000
	s_mov_b32 s60, s90                                         // 000000026158: BEBC005A
	s_add_u32 s61, s89, 0xff                                   // 00000002615C: 803DFF59 000000FF
	v_mov_b32_e32 v64, s61                                     // 000000026164: 7E80023D
	v_lshrrev_b32_e32 v240, 4, v0                              // 000000026168: 21E00084
	v_mul_i32_i24_e32 v240, 4, v240                            // 00000002616C: 0DE1E084
	v_add_u32_e32 v240, s60, v240                              // 000000026170: 69E1E03C
	s_mov_b32 s61, 1                                           // 000000026174: BEBD0081
	s_mul_i32 s60, 16, s7                                      // 000000026178: 923C0790
	v_sub_u32_e64 v240, v240, s61                              // 00000002617C: D13500F0 00007BF0
	v_add_u32_e32 v240, s60, v240                              // 000000026184: 69E1E03C
	v_add_u32_e32 v241, 1, v240                                // 000000026188: 69E3E081
	v_add_u32_e32 v242, 2, v240                                // 00000002618C: 69E5E082
	v_add_u32_e32 v243, 3, v240                                // 000000026190: 69E7E083
	v_cmp_le_u32_e64 s[40:41], v240, v64                       // 000000026194: D0CB0028 000281F0
	v_add_u32_e32 v240, 64, v240                               // 00000002619C: 69E1E0C0
	s_nop 0                                                    // 0000000261A0: BF800000
	v_cndmask_b32_e64 v128, v66, v128, s[40:41]                // 0000000261A4: D1000080 00A30142
	v_cmp_le_u32_e64 s[40:41], v241, v64                       // 0000000261AC: D0CB0028 000281F1
	v_add_u32_e32 v241, 64, v241                               // 0000000261B4: 69E3E2C0
	s_nop 0                                                    // 0000000261B8: BF800000
	v_cndmask_b32_e64 v129, v66, v129, s[40:41]                // 0000000261BC: D1000081 00A30342
	v_cmp_le_u32_e64 s[40:41], v242, v64                       // 0000000261C4: D0CB0028 000281F2
	v_add_u32_e32 v242, 64, v242                               // 0000000261CC: 69E5E4C0
	s_nop 0                                                    // 0000000261D0: BF800000
	v_cndmask_b32_e64 v130, v66, v130, s[40:41]                // 0000000261D4: D1000082 00A30542
	v_cmp_le_u32_e64 s[40:41], v243, v64                       // 0000000261DC: D0CB0028 000281F3
	v_add_u32_e32 v243, 64, v243                               // 0000000261E4: 69E7E6C0
	s_nop 0                                                    // 0000000261E8: BF800000
	v_cndmask_b32_e64 v131, v66, v131, s[40:41]                // 0000000261EC: D1000083 00A30742
	v_cmp_le_u32_e64 s[40:41], v240, v64                       // 0000000261F4: D0CB0028 000281F0
	v_add_u32_e32 v240, 64, v240                               // 0000000261FC: 69E1E0C0
	s_nop 0                                                    // 000000026200: BF800000
	v_cndmask_b32_e64 v132, v66, v132, s[40:41]                // 000000026204: D1000084 00A30942
	v_cmp_le_u32_e64 s[40:41], v241, v64                       // 00000002620C: D0CB0028 000281F1
	v_add_u32_e32 v241, 64, v241                               // 000000026214: 69E3E2C0
	s_nop 0                                                    // 000000026218: BF800000
	v_cndmask_b32_e64 v133, v66, v133, s[40:41]                // 00000002621C: D1000085 00A30B42
	v_cmp_le_u32_e64 s[40:41], v242, v64                       // 000000026224: D0CB0028 000281F2
	v_add_u32_e32 v242, 64, v242                               // 00000002622C: 69E5E4C0
	s_nop 0                                                    // 000000026230: BF800000
	v_cndmask_b32_e64 v134, v66, v134, s[40:41]                // 000000026234: D1000086 00A30D42
	v_cmp_le_u32_e64 s[40:41], v243, v64                       // 00000002623C: D0CB0028 000281F3
	v_add_u32_e32 v243, 64, v243                               // 000000026244: 69E7E6C0
	s_nop 0                                                    // 000000026248: BF800000
	v_cndmask_b32_e64 v135, v66, v135, s[40:41]                // 00000002624C: D1000087 00A30F42
	v_cmp_le_u32_e64 s[40:41], v240, v64                       // 000000026254: D0CB0028 000281F0
	v_add_u32_e32 v240, 64, v240                               // 00000002625C: 69E1E0C0
	s_nop 0                                                    // 000000026260: BF800000
	v_cndmask_b32_e64 v136, v66, v136, s[40:41]                // 000000026264: D1000088 00A31142
	v_cmp_le_u32_e64 s[40:41], v241, v64                       // 00000002626C: D0CB0028 000281F1
	v_add_u32_e32 v241, 64, v241                               // 000000026274: 69E3E2C0
	s_nop 0                                                    // 000000026278: BF800000
	v_cndmask_b32_e64 v137, v66, v137, s[40:41]                // 00000002627C: D1000089 00A31342
	v_cmp_le_u32_e64 s[40:41], v242, v64                       // 000000026284: D0CB0028 000281F2
	v_add_u32_e32 v242, 64, v242                               // 00000002628C: 69E5E4C0
	s_nop 0                                                    // 000000026290: BF800000
	v_cndmask_b32_e64 v138, v66, v138, s[40:41]                // 000000026294: D100008A 00A31542
	v_cmp_le_u32_e64 s[40:41], v243, v64                       // 00000002629C: D0CB0028 000281F3
	v_add_u32_e32 v243, 64, v243                               // 0000000262A4: 69E7E6C0
	s_nop 0                                                    // 0000000262A8: BF800000
	v_cndmask_b32_e64 v139, v66, v139, s[40:41]                // 0000000262AC: D100008B 00A31742
	v_cmp_le_u32_e64 s[40:41], v240, v64                       // 0000000262B4: D0CB0028 000281F0
	v_add_u32_e32 v240, 64, v240                               // 0000000262BC: 69E1E0C0
	s_nop 0                                                    // 0000000262C0: BF800000
	v_cndmask_b32_e64 v140, v66, v140, s[40:41]                // 0000000262C4: D100008C 00A31942
	v_cmp_le_u32_e64 s[40:41], v241, v64                       // 0000000262CC: D0CB0028 000281F1
	v_add_u32_e32 v241, 64, v241                               // 0000000262D4: 69E3E2C0
	s_nop 0                                                    // 0000000262D8: BF800000
	v_cndmask_b32_e64 v141, v66, v141, s[40:41]                // 0000000262DC: D100008D 00A31B42
	v_cmp_le_u32_e64 s[40:41], v242, v64                       // 0000000262E4: D0CB0028 000281F2
	v_add_u32_e32 v242, 64, v242                               // 0000000262EC: 69E5E4C0
	s_nop 0                                                    // 0000000262F0: BF800000
	v_cndmask_b32_e64 v142, v66, v142, s[40:41]                // 0000000262F4: D100008E 00A31D42
	v_cmp_le_u32_e64 s[40:41], v243, v64                       // 0000000262FC: D0CB0028 000281F3
	v_add_u32_e32 v243, 64, v243                               // 000000026304: 69E7E6C0
	s_nop 0                                                    // 000000026308: BF800000
	v_cndmask_b32_e64 v143, v66, v143, s[40:41]                // 00000002630C: D100008F 00A31F42

0000000000026314 <label_9045>:
	v_mov_b32_e32 v48, v128                                    // 000000026314: 7E600380
	v_max3_f32 v48, v128, v129, v48                            // 000000026318: D1D30030 04C30380
	v_max3_f32 v48, v130, v131, v48                            // 000000026320: D1D30030 04C30782
	v_max3_f32 v48, v132, v133, v48                            // 000000026328: D1D30030 04C30B84
	v_max3_f32 v48, v134, v135, v48                            // 000000026330: D1D30030 04C30F86
	v_max3_f32 v48, v136, v137, v48                            // 000000026338: D1D30030 04C31388
	v_max3_f32 v48, v138, v139, v48                            // 000000026340: D1D30030 04C3178A
	v_max3_f32 v48, v140, v141, v48                            // 000000026348: D1D30030 04C31B8C
	v_max3_f32 v48, v142, v143, v48                            // 000000026350: D1D30030 04C31F8E
	ds_write_b32 v8, v48 offset:16896                          // 000000026358: D81A4200 00003008
	v_mul_f32_e32 v216, v50, v216                              // 000000026360: 0BB1B132
	v_mul_f32_e32 v217, v50, v217                              // 000000026364: 0BB3B332
	v_mul_f32_e32 v218, v50, v218                              // 000000026368: 0BB5B532
	v_mul_f32_e32 v219, v50, v219                              // 00000002636C: 0BB7B732
	v_mul_f32_e32 v220, v50, v220                              // 000000026370: 0BB9B932
	v_mul_f32_e32 v221, v50, v221                              // 000000026374: 0BBBBB32
	v_mul_f32_e32 v222, v50, v222                              // 000000026378: 0BBDBD32
	v_mul_f32_e32 v223, v50, v223                              // 00000002637C: 0BBFBF32
	s_waitcnt lgkmcnt(0)                                       // 000000026380: BF8CC07F
	s_barrier                                                  // 000000026384: BF8A0000
	ds_read_b32 v64, v7 offset:16896                           // 000000026388: D86C4200 40000007
	ds_read_b32 v65, v7 offset:16960                           // 000000026390: D86C4240 41000007
	ds_read_b32 v66, v7 offset:17024                           // 000000026398: D86C4280 42000007
	ds_read_b32 v67, v7 offset:17088                           // 0000000263A0: D86C42C0 43000007
	ds_read_b32 v68, v7 offset:17152                           // 0000000263A8: D86C4300 44000007
	ds_read_b32 v69, v7 offset:17216                           // 0000000263B0: D86C4340 45000007
	ds_read_b32 v70, v7 offset:17280                           // 0000000263B8: D86C4380 46000007
	ds_read_b32 v71, v7 offset:17344                           // 0000000263C0: D86C43C0 47000007
	ds_read_b32 v72, v7 offset:17408                           // 0000000263C8: D86C4400 48000007
	ds_read_b32 v73, v7 offset:17472                           // 0000000263D0: D86C4440 49000007
	ds_read_b32 v74, v7 offset:17536                           // 0000000263D8: D86C4480 4A000007
	ds_read_b32 v75, v7 offset:17600                           // 0000000263E0: D86C44C0 4B000007
	ds_read_b32 v76, v7 offset:17664                           // 0000000263E8: D86C4500 4C000007
	ds_read_b32 v77, v7 offset:17728                           // 0000000263F0: D86C4540 4D000007
	ds_read_b32 v78, v7 offset:17792                           // 0000000263F8: D86C4580 4E000007
	ds_read_b32 v79, v7 offset:17856                           // 000000026400: D86C45C0 4F000007
	v_cvt_f32_i32_e32 v184, v184                               // 000000026408: 7F700BB8
	v_cvt_f32_i32_e32 v185, v185                               // 00000002640C: 7F720BB9
	v_cvt_f32_i32_e32 v186, v186                               // 000000026410: 7F740BBA
	v_cvt_f32_i32_e32 v187, v187                               // 000000026414: 7F760BBB
	v_cvt_f32_i32_e32 v188, v188                               // 000000026418: 7F780BBC
	v_cvt_f32_i32_e32 v189, v189                               // 00000002641C: 7F7A0BBD
	v_cvt_f32_i32_e32 v190, v190                               // 000000026420: 7F7C0BBE
	v_cvt_f32_i32_e32 v191, v191                               // 000000026424: 7F7E0BBF
	v_mul_f32_e32 v184, v45, v184                              // 000000026428: 0B71712D
	v_mul_f32_e32 v185, v45, v185                              // 00000002642C: 0B73732D
	v_mul_f32_e32 v186, v45, v186                              // 000000026430: 0B75752D
	v_mul_f32_e32 v187, v45, v187                              // 000000026434: 0B77772D
	v_mul_f32_e32 v188, v45, v188                              // 000000026438: 0B79792D
	v_mul_f32_e32 v189, v45, v189                              // 00000002643C: 0B7B7B2D
	v_mul_f32_e32 v190, v45, v190                              // 000000026440: 0B7D7D2D
	v_mul_f32_e32 v191, v45, v191                              // 000000026444: 0B7F7F2D
	s_waitcnt lgkmcnt(0)                                       // 000000026448: BF8CC07F
	v_max3_f32 v48, v64, v65, v48                              // 00000002644C: D1D30030 04C28340
	v_max3_f32 v48, v66, v67, v48                              // 000000026454: D1D30030 04C28742
	v_max3_f32 v48, v68, v69, v48                              // 00000002645C: D1D30030 04C28B44
	v_max3_f32 v48, v70, v71, v48                              // 000000026464: D1D30030 04C28F46
	v_max3_f32 v48, v72, v73, v48                              // 00000002646C: D1D30030 04C29348
	v_max3_f32 v48, v74, v75, v48                              // 000000026474: D1D30030 04C2974A
	v_max3_f32 v48, v76, v77, v48                              // 00000002647C: D1D30030 04C29B4C
	v_max3_f32 v48, v78, v79, v48                              // 000000026484: D1D30030 04C29F4E
	v_mov_b32_e32 v64, 0xff800000                              // 00000002648C: 7E8002FF FF800000
	v_cmp_eq_u32_e64 s[40:41], v64, v12                        // 000000026494: D0CA0028 00021940
	s_nop 1                                                    // 00000002649C: BF800001
	v_max_f32_e32 v15, v48, v12                                // 0000000264A0: 161E1930
	v_mul_f32_e32 v53, s64, v15                                // 0000000264A4: 0A6A1E40
	v_fma_f32 v128, v128, s64, -v53                            // 0000000264A8: D1CB0080 84D48180
	v_fma_f32 v129, v129, s64, -v53                            // 0000000264B0: D1CB0081 84D48181
	v_fma_f32 v130, v130, s64, -v53                            // 0000000264B8: D1CB0082 84D48182
	v_fma_f32 v131, v131, s64, -v53                            // 0000000264C0: D1CB0083 84D48183
	v_fma_f32 v132, v132, s64, -v53                            // 0000000264C8: D1CB0084 84D48184
	v_fma_f32 v133, v133, s64, -v53                            // 0000000264D0: D1CB0085 84D48185
	v_fma_f32 v134, v134, s64, -v53                            // 0000000264D8: D1CB0086 84D48186
	v_fma_f32 v135, v135, s64, -v53                            // 0000000264E0: D1CB0087 84D48187
	v_fma_f32 v136, v136, s64, -v53                            // 0000000264E8: D1CB0088 84D48188
	v_fma_f32 v137, v137, s64, -v53                            // 0000000264F0: D1CB0089 84D48189
	v_fma_f32 v138, v138, s64, -v53                            // 0000000264F8: D1CB008A 84D4818A
	v_fma_f32 v139, v139, s64, -v53                            // 000000026500: D1CB008B 84D4818B
	v_fma_f32 v140, v140, s64, -v53                            // 000000026508: D1CB008C 84D4818C
	v_fma_f32 v141, v141, s64, -v53                            // 000000026510: D1CB008D 84D4818D
	v_fma_f32 v142, v142, s64, -v53                            // 000000026518: D1CB008E 84D4818E
	v_fma_f32 v143, v143, s64, -v53                            // 000000026520: D1CB008F 84D4818F
	v_exp_f32_e32 v128, v128                                   // 000000026528: 7F004180
	v_exp_f32_e32 v129, v129                                   // 00000002652C: 7F024181
	v_exp_f32_e32 v130, v130                                   // 000000026530: 7F044182
	v_exp_f32_e32 v131, v131                                   // 000000026534: 7F064183
	v_exp_f32_e32 v132, v132                                   // 000000026538: 7F084184
	v_exp_f32_e32 v133, v133                                   // 00000002653C: 7F0A4185
	v_exp_f32_e32 v134, v134                                   // 000000026540: 7F0C4186
	v_exp_f32_e32 v135, v135                                   // 000000026544: 7F0E4187
	v_exp_f32_e32 v136, v136                                   // 000000026548: 7F104188
	v_exp_f32_e32 v137, v137                                   // 00000002654C: 7F124189
	v_exp_f32_e32 v138, v138                                   // 000000026550: 7F14418A
	v_exp_f32_e32 v139, v139                                   // 000000026554: 7F16418B
	v_exp_f32_e32 v140, v140                                   // 000000026558: 7F18418C
	v_exp_f32_e32 v141, v141                                   // 00000002655C: 7F1A418D
	v_exp_f32_e32 v142, v142                                   // 000000026560: 7F1C418E
	v_exp_f32_e32 v143, v143                                   // 000000026564: 7F1E418F
	v_mul_f32_dpp v240, v252, v128 quad_perm:[0,0,0,0] row_mask:0xf bank_mask:0xf// 000000026568: 0BE100FA FF0000FC
	v_mul_f32_dpp v241, v252, v129 quad_perm:[1,1,1,1] row_mask:0xf bank_mask:0xf// 000000026570: 0BE302FA FF0055FC
	v_mul_f32_dpp v242, v252, v130 quad_perm:[2,2,2,2] row_mask:0xf bank_mask:0xf// 000000026578: 0BE504FA FF00AAFC
	v_mul_f32_dpp v243, v252, v131 quad_perm:[3,3,3,3] row_mask:0xf bank_mask:0xf// 000000026580: 0BE706FA FF00FFFC
	v_mul_f32_dpp v244, v253, v132 quad_perm:[0,0,0,0] row_mask:0xf bank_mask:0xf// 000000026588: 0BE908FA FF0000FD
	v_mul_f32_dpp v245, v253, v133 quad_perm:[1,1,1,1] row_mask:0xf bank_mask:0xf// 000000026590: 0BEB0AFA FF0055FD
	v_mul_f32_dpp v246, v253, v134 quad_perm:[2,2,2,2] row_mask:0xf bank_mask:0xf// 000000026598: 0BED0CFA FF00AAFD
	v_mul_f32_dpp v247, v253, v135 quad_perm:[3,3,3,3] row_mask:0xf bank_mask:0xf// 0000000265A0: 0BEF0EFA FF00FFFD
	v_mul_f32_dpp v248, v254, v136 quad_perm:[0,0,0,0] row_mask:0xf bank_mask:0xf// 0000000265A8: 0BF110FA FF0000FE
	v_mul_f32_dpp v249, v254, v137 quad_perm:[1,1,1,1] row_mask:0xf bank_mask:0xf// 0000000265B0: 0BF312FA FF0055FE
	v_mul_f32_dpp v250, v254, v138 quad_perm:[2,2,2,2] row_mask:0xf bank_mask:0xf// 0000000265B8: 0BF514FA FF00AAFE
	v_mul_f32_dpp v251, v254, v139 quad_perm:[3,3,3,3] row_mask:0xf bank_mask:0xf// 0000000265C0: 0BF716FA FF00FFFE
	v_mul_f32_dpp v252, v255, v140 quad_perm:[0,0,0,0] row_mask:0xf bank_mask:0xf// 0000000265C8: 0BF918FA FF0000FF
	v_mul_f32_dpp v253, v255, v141 quad_perm:[1,1,1,1] row_mask:0xf bank_mask:0xf// 0000000265D0: 0BFB1AFA FF0055FF
	v_mul_f32_dpp v254, v255, v142 quad_perm:[2,2,2,2] row_mask:0xf bank_mask:0xf// 0000000265D8: 0BFD1CFA FF00AAFF
	v_mul_f32_dpp v255, v255, v143 quad_perm:[3,3,3,3] row_mask:0xf bank_mask:0xf// 0000000265E0: 0BFF1EFA FF00FFFF
	v_mov_b32_e32 v48, 0x358637bd                              // 0000000265E8: 7E6002FF 358637BD
	v_max3_f32 v48, |v240|, |v241|, v48                        // 0000000265F0: D1D30330 04C3E3F0
	v_max3_f32 v48, |v242|, |v243|, v48                        // 0000000265F8: D1D30330 04C3E7F2
	v_max3_f32 v48, |v244|, |v245|, v48                        // 000000026600: D1D30330 04C3EBF4
	v_max3_f32 v48, |v246|, |v247|, v48                        // 000000026608: D1D30330 04C3EFF6
	v_max3_f32 v48, |v248|, |v249|, v48                        // 000000026610: D1D30330 04C3F3F8
	v_max3_f32 v48, |v250|, |v251|, v48                        // 000000026618: D1D30330 04C3F7FA
	v_max3_f32 v48, |v252|, |v253|, v48                        // 000000026620: D1D30330 04C3FBFC
	v_max3_f32 v48, |v254|, |v255|, v48                        // 000000026628: D1D30330 04C3FFFE
	ds_write_b32 v8, v48 offset:20992                          // 000000026630: D81A5200 00003008
	v_sub_f32_e32 v50, v12, v15                                // 000000026638: 04641F0C
	v_cndmask_b32_e64 v50, v50, 0, s[40:41]                    // 00000002663C: D1000032 00A10132
	v_mov_b32_e32 v12, v15                                     // 000000026644: 7E18030F
	v_mul_f32_e32 v50, s64, v50                                // 000000026648: 0A646440
	v_exp_f32_e32 v50, v50                                     // 00000002664C: 7E644132
	s_waitcnt lgkmcnt(0)                                       // 000000026650: BF8CC07F
	s_barrier                                                  // 000000026654: BF8A0000
	ds_read_b32 v64, v7 offset:20992                           // 000000026658: D86C5200 40000007
	ds_read_b32 v65, v7 offset:21056                           // 000000026660: D86C5240 41000007
	ds_read_b32 v66, v7 offset:21120                           // 000000026668: D86C5280 42000007
	ds_read_b32 v67, v7 offset:21184                           // 000000026670: D86C52C0 43000007
	ds_read_b32 v68, v7 offset:21248                           // 000000026678: D86C5300 44000007
	ds_read_b32 v69, v7 offset:21312                           // 000000026680: D86C5340 45000007
	ds_read_b32 v70, v7 offset:21376                           // 000000026688: D86C5380 46000007
	ds_read_b32 v71, v7 offset:21440                           // 000000026690: D86C53C0 47000007
	ds_read_b32 v72, v7 offset:21504                           // 000000026698: D86C5400 48000007
	ds_read_b32 v73, v7 offset:21568                           // 0000000266A0: D86C5440 49000007
	ds_read_b32 v74, v7 offset:21632                           // 0000000266A8: D86C5480 4A000007
	ds_read_b32 v75, v7 offset:21696                           // 0000000266B0: D86C54C0 4B000007
	ds_read_b32 v76, v7 offset:21760                           // 0000000266B8: D86C5500 4C000007
	ds_read_b32 v77, v7 offset:21824                           // 0000000266C0: D86C5540 4D000007
	ds_read_b32 v78, v7 offset:21888                           // 0000000266C8: D86C5580 4E000007
	ds_read_b32 v79, v7 offset:21952                           // 0000000266D0: D86C55C0 4F000007
	v_mul_f32_e32 v39, v50, v39                                // 0000000266D8: 0A4E4F32
	v_mov_b32_e32 v15, v128                                    // 0000000266DC: 7E1E0380
	v_add_f32_e32 v15, v129, v15                               // 0000000266E0: 021E1F81
	v_add_f32_e32 v15, v130, v15                               // 0000000266E4: 021E1F82
	v_add_f32_e32 v15, v131, v15                               // 0000000266E8: 021E1F83
	v_add_f32_e32 v15, v132, v15                               // 0000000266EC: 021E1F84
	v_add_f32_e32 v15, v133, v15                               // 0000000266F0: 021E1F85
	v_add_f32_e32 v15, v134, v15                               // 0000000266F4: 021E1F86
	v_add_f32_e32 v15, v135, v15                               // 0000000266F8: 021E1F87
	v_add_f32_e32 v15, v136, v15                               // 0000000266FC: 021E1F88
	v_add_f32_e32 v15, v137, v15                               // 000000026700: 021E1F89
	v_add_f32_e32 v15, v138, v15                               // 000000026704: 021E1F8A
	v_add_f32_e32 v15, v139, v15                               // 000000026708: 021E1F8B
	v_add_f32_e32 v15, v140, v15                               // 00000002670C: 021E1F8C
	v_add_f32_e32 v15, v141, v15                               // 000000026710: 021E1F8D
	v_add_f32_e32 v15, v142, v15                               // 000000026714: 021E1F8E
	v_add_f32_e32 v15, v143, v15                               // 000000026718: 021E1F8F
	v_add_f32_e32 v39, v15, v39                                // 00000002671C: 024E4F0F
	s_waitcnt lgkmcnt(0)                                       // 000000026720: BF8CC07F
	v_max3_f32 v48, |v64|, |v65|, v48                          // 000000026724: D1D30330 04C28340
	v_max3_f32 v48, |v66|, |v67|, v48                          // 00000002672C: D1D30330 04C28742
	v_max3_f32 v48, |v68|, |v69|, v48                          // 000000026734: D1D30330 04C28B44
	v_max3_f32 v48, |v70|, |v71|, v48                          // 00000002673C: D1D30330 04C28F46
	v_max3_f32 v48, |v72|, |v73|, v48                          // 000000026744: D1D30330 04C29348
	v_max3_f32 v48, |v74|, |v75|, v48                          // 00000002674C: D1D30330 04C2974A
	v_max3_f32 v48, |v76|, |v77|, v48                          // 000000026754: D1D30330 04C29B4C
	v_max3_f32 v48, |v78|, |v79|, v48                          // 00000002675C: D1D30330 04C29F4E
	s_nop 2                                                    // 000000026764: BF800002
	v_rcp_f32_e32 v48, v48                                     // 000000026768: 7E604530
	s_nop 1                                                    // 00000002676C: BF800001
	v_mul_f32_e32 v48, 0x42fe0000, v48                         // 000000026770: 0A6060FF 42FE0000
	v_mul_f32_e32 v128, v48, v240                              // 000000026778: 0B01E130
	v_mul_f32_e32 v129, v48, v241                              // 00000002677C: 0B03E330
	v_mul_f32_e32 v130, v48, v242                              // 000000026780: 0B05E530
	v_mul_f32_e32 v131, v48, v243                              // 000000026784: 0B07E730
	v_mul_f32_e32 v132, v48, v244                              // 000000026788: 0B09E930
	v_mul_f32_e32 v133, v48, v245                              // 00000002678C: 0B0BEB30
	v_mul_f32_e32 v134, v48, v246                              // 000000026790: 0B0DED30
	v_mul_f32_e32 v135, v48, v247                              // 000000026794: 0B0FEF30
	v_mul_f32_e32 v136, v48, v248                              // 000000026798: 0B11F130
	v_mul_f32_e32 v137, v48, v249                              // 00000002679C: 0B13F330
	v_mul_f32_e32 v138, v48, v250                              // 0000000267A0: 0B15F530
	v_mul_f32_e32 v139, v48, v251                              // 0000000267A4: 0B17F730
	v_mul_f32_e32 v140, v48, v252                              // 0000000267A8: 0B19F930
	v_mul_f32_e32 v141, v48, v253                              // 0000000267AC: 0B1BFB30
	v_mul_f32_e32 v142, v48, v254                              // 0000000267B0: 0B1DFD30
	v_mul_f32_e32 v143, v48, v255                              // 0000000267B4: 0B1FFF30
	v_cvt_i32_f32_e32 v128, v128                               // 0000000267B8: 7F001180
	v_cvt_i32_f32_e32 v129, v129                               // 0000000267BC: 7F021181
	v_cvt_i32_f32_e32 v130, v130                               // 0000000267C0: 7F041182
	v_cvt_i32_f32_e32 v131, v131                               // 0000000267C4: 7F061183
	v_cvt_i32_f32_e32 v132, v132                               // 0000000267C8: 7F081184
	v_cvt_i32_f32_e32 v133, v133                               // 0000000267CC: 7F0A1185
	v_cvt_i32_f32_e32 v134, v134                               // 0000000267D0: 7F0C1186
	v_cvt_i32_f32_e32 v135, v135                               // 0000000267D4: 7F0E1187
	v_cvt_i32_f32_e32 v136, v136                               // 0000000267D8: 7F101188
	v_cvt_i32_f32_e32 v137, v137                               // 0000000267DC: 7F121189
	v_cvt_i32_f32_e32 v138, v138                               // 0000000267E0: 7F14118A
	v_cvt_i32_f32_e32 v139, v139                               // 0000000267E4: 7F16118B
	v_cvt_i32_f32_e32 v140, v140                               // 0000000267E8: 7F18118C
	v_cvt_i32_f32_e32 v141, v141                               // 0000000267EC: 7F1A118D
	v_cvt_i32_f32_e32 v142, v142                               // 0000000267F0: 7F1C118E
	v_cvt_i32_f32_e32 v143, v143                               // 0000000267F4: 7F1E118F
	v_perm_b32 v128, v129, v128, s53                           // 0000000267F8: D1ED0080 00D70181
	v_perm_b32 v128, v130, v128, s54                           // 000000026800: D1ED0080 00DB0182
	v_perm_b32 v128, v131, v128, s55                           // 000000026808: D1ED0080 00DF0183
	v_perm_b32 v129, v133, v132, s53                           // 000000026810: D1ED0081 00D70985
	v_perm_b32 v129, v134, v129, s54                           // 000000026818: D1ED0081 00DB0386
	v_perm_b32 v129, v135, v129, s55                           // 000000026820: D1ED0081 00DF0387
	v_perm_b32 v130, v137, v136, s53                           // 000000026828: D1ED0082 00D71189
	v_perm_b32 v130, v138, v130, s54                           // 000000026830: D1ED0082 00DB058A
	v_perm_b32 v130, v139, v130, s55                           // 000000026838: D1ED0082 00DF058B
	v_perm_b32 v131, v141, v140, s53                           // 000000026840: D1ED0083 00D7198D
	v_perm_b32 v131, v142, v131, s54                           // 000000026848: D1ED0083 00DB078E
	v_perm_b32 v131, v143, v131, s55                           // 000000026850: D1ED0083 00DF078F
	ds_write_b32 v10, v128 offset:29184                        // 000000026858: D81A7200 0000800A
	ds_write_b32 v10, v129 offset:30208                        // 000000026860: D81A7600 0000810A
	ds_write_b32 v10, v130 offset:31232                        // 000000026868: D81A7A00 0000820A
	ds_write_b32 v10, v131 offset:32256                        // 000000026870: D81A7E00 0000830A
	v_add_f32_e32 v216, v216, v184                             // 000000026878: 03B171D8
	v_add_f32_e32 v217, v217, v185                             // 00000002687C: 03B373D9
	v_add_f32_e32 v218, v218, v186                             // 000000026880: 03B575DA
	v_add_f32_e32 v219, v219, v187                             // 000000026884: 03B777DB
	v_add_f32_e32 v220, v220, v188                             // 000000026888: 03B979DC
	v_add_f32_e32 v221, v221, v189                             // 00000002688C: 03BB7BDD
	v_add_f32_e32 v222, v222, v190                             // 000000026890: 03BD7DDE
	v_add_f32_e32 v223, v223, v191                             // 000000026894: 03BF7FDF
	v_rcp_f32_e32 v45, v48                                     // 000000026898: 7E5A4530
	s_waitcnt lgkmcnt(0)                                       // 00000002689C: BF8CC07F
	s_barrier                                                  // 0000000268A0: BF8A0000
	ds_read_b64 v[128:129], v9 offset:29184                    // 0000000268A4: D8EC7200 80000009
	ds_read_b64 v[130:131], v9 offset:29312                    // 0000000268AC: D8EC7280 82000009
	ds_read_b64 v[132:133], v9 offset:30208                    // 0000000268B4: D8EC7600 84000009
	ds_read_b64 v[134:135], v9 offset:30336                    // 0000000268BC: D8EC7680 86000009
	ds_read_b64 v[136:137], v9 offset:31232                    // 0000000268C4: D8EC7A00 88000009
	ds_read_b64 v[138:139], v9 offset:31360                    // 0000000268CC: D8EC7A80 8A000009
	ds_read_b64 v[140:141], v9 offset:32256                    // 0000000268D4: D8EC7E00 8C000009
	ds_read_b64 v[142:143], v9 offset:32384                    // 0000000268DC: D8EC7E80 8E000009
	v_mov_b32_dpp v64, v42 row_shr:4 row_mask:0xf bank_mask:0xf// 0000000268E4: 7E8002FA FF01142A
	v_mov_b32_dpp v65, v42 row_shl:4 row_mask:0xf bank_mask:0xf// 0000000268EC: 7E8202FA FF01042A
	v_cndmask_b32_e64 v248, v42, v64, s[44:45]                 // 0000000268F4: D10000F8 00B2812A
	v_cndmask_b32_e64 v249, v65, v42, s[44:45]                 // 0000000268FC: D10000F9 00B25541
	v_mov_b32_dpp v64, v248 row_shr:8 row_mask:0xf bank_mask:0xf// 000000026904: 7E8002FA FF0118F8
	v_mov_b32_dpp v65, v248 row_shl:8 row_mask:0xf bank_mask:0xf// 00000002690C: 7E8202FA FF0108F8
	v_mov_b32_dpp v66, v249 row_shr:8 row_mask:0xf bank_mask:0xf// 000000026914: 7E8402FA FF0118F9
	v_mov_b32_dpp v67, v249 row_shl:8 row_mask:0xf bank_mask:0xf// 00000002691C: 7E8602FA FF0108F9
	v_mov_b32_e32 v68, v248                                    // 000000026924: 7E8803F8
	v_mov_b32_e32 v69, v249                                    // 000000026928: 7E8A03F9
	v_cndmask_b32_e64 v248, v68, v64, s[42:43]                 // 00000002692C: D10000F8 00AA8144
	v_cndmask_b32_e64 v250, v68, v65, s[78:79]                 // 000000026934: D10000FA 013A8344
	v_cndmask_b32_e64 v249, v69, v66, s[42:43]                 // 00000002693C: D10000F9 00AA8545
	v_cndmask_b32_e64 v251, v69, v67, s[78:79]                 // 000000026944: D10000FB 013A8745
	v_mov_b32_dpp v64, v57 row_shr:4 row_mask:0xf bank_mask:0xf// 00000002694C: 7E8002FA FF011439
	v_mov_b32_dpp v65, v57 row_shl:4 row_mask:0xf bank_mask:0xf// 000000026954: 7E8202FA FF010439
	v_cndmask_b32_e64 v252, v57, v64, s[44:45]                 // 00000002695C: D10000FC 00B28139
	v_cndmask_b32_e64 v253, v65, v57, s[44:45]                 // 000000026964: D10000FD 00B27341
	v_mov_b32_dpp v64, v252 row_shr:8 row_mask:0xf bank_mask:0xf// 00000002696C: 7E8002FA FF0118FC
	v_mov_b32_dpp v65, v252 row_shl:8 row_mask:0xf bank_mask:0xf// 000000026974: 7E8202FA FF0108FC
	v_mov_b32_dpp v66, v253 row_shr:8 row_mask:0xf bank_mask:0xf// 00000002697C: 7E8402FA FF0118FD
	v_mov_b32_dpp v67, v253 row_shl:8 row_mask:0xf bank_mask:0xf// 000000026984: 7E8602FA FF0108FD
	v_mov_b32_e32 v68, v252                                    // 00000002698C: 7E8803FC
	v_mov_b32_e32 v69, v253                                    // 000000026990: 7E8A03FD
	v_cndmask_b32_e64 v252, v68, v64, s[42:43]                 // 000000026994: D10000FC 00AA8144
	v_cndmask_b32_e64 v254, v68, v65, s[78:79]                 // 00000002699C: D10000FE 013A8344
	v_cndmask_b32_e64 v253, v69, v66, s[42:43]                 // 0000000269A4: D10000FD 00AA8545
	v_cndmask_b32_e64 v255, v69, v67, s[78:79]                 // 0000000269AC: D10000FF 013A8745
	v_cvt_f32_i32_e32 v144, v144                               // 0000000269B4: 7F200B90
	v_cvt_f32_i32_e32 v145, v145                               // 0000000269B8: 7F220B91
	v_cvt_f32_i32_e32 v146, v146                               // 0000000269BC: 7F240B92
	v_cvt_f32_i32_e32 v147, v147                               // 0000000269C0: 7F260B93
	v_cvt_f32_i32_e32 v148, v148                               // 0000000269C4: 7F280B94
	v_cvt_f32_i32_e32 v149, v149                               // 0000000269C8: 7F2A0B95
	v_cvt_f32_i32_e32 v150, v150                               // 0000000269CC: 7F2C0B96
	v_cvt_f32_i32_e32 v151, v151                               // 0000000269D0: 7F2E0B97
	v_cvt_f32_i32_e32 v152, v152                               // 0000000269D4: 7F300B98
	v_cvt_f32_i32_e32 v153, v153                               // 0000000269D8: 7F320B99
	v_cvt_f32_i32_e32 v154, v154                               // 0000000269DC: 7F340B9A
	v_cvt_f32_i32_e32 v155, v155                               // 0000000269E0: 7F360B9B
	v_cvt_f32_i32_e32 v156, v156                               // 0000000269E4: 7F380B9C
	v_cvt_f32_i32_e32 v157, v157                               // 0000000269E8: 7F3A0B9D
	v_cvt_f32_i32_e32 v158, v158                               // 0000000269EC: 7F3C0B9E
	v_cvt_f32_i32_e32 v159, v159                               // 0000000269F0: 7F3E0B9F
	v_mul_f32_e32 v144, v20, v144                              // 0000000269F4: 0B212114
	v_mul_f32_e32 v145, v20, v145                              // 0000000269F8: 0B232314
	v_mul_f32_e32 v146, v20, v146                              // 0000000269FC: 0B252514
	v_mul_f32_e32 v147, v20, v147                              // 000000026A00: 0B272714
	v_mul_f32_e32 v148, v20, v148                              // 000000026A04: 0B292914
	v_mul_f32_e32 v149, v20, v149                              // 000000026A08: 0B2B2B14
	v_mul_f32_e32 v150, v20, v150                              // 000000026A0C: 0B2D2D14
	v_mul_f32_e32 v151, v20, v151                              // 000000026A10: 0B2F2F14
	v_mul_f32_e32 v152, v20, v152                              // 000000026A14: 0B313114
	v_mul_f32_e32 v153, v20, v153                              // 000000026A18: 0B333314
	v_mul_f32_e32 v154, v20, v154                              // 000000026A1C: 0B353514
	v_mul_f32_e32 v155, v20, v155                              // 000000026A20: 0B373714
	v_mul_f32_e32 v156, v20, v156                              // 000000026A24: 0B393914
	v_mul_f32_e32 v157, v20, v157                              // 000000026A28: 0B3B3B14
	v_mul_f32_e32 v158, v20, v158                              // 000000026A2C: 0B3D3D14
	v_mul_f32_e32 v159, v20, v159                              // 000000026A30: 0B3F3F14
	v_mul_f32_dpp v144, v248, v144 quad_perm:[0,0,0,0] row_mask:0xf bank_mask:0xf// 000000026A34: 0B2120FA FF0000F8
	v_mul_f32_dpp v145, v248, v145 quad_perm:[1,1,1,1] row_mask:0xf bank_mask:0xf// 000000026A3C: 0B2322FA FF0055F8
	v_mul_f32_dpp v146, v248, v146 quad_perm:[2,2,2,2] row_mask:0xf bank_mask:0xf// 000000026A44: 0B2524FA FF00AAF8
	v_mul_f32_dpp v147, v248, v147 quad_perm:[3,3,3,3] row_mask:0xf bank_mask:0xf// 000000026A4C: 0B2726FA FF00FFF8
	v_mul_f32_dpp v148, v249, v148 quad_perm:[0,0,0,0] row_mask:0xf bank_mask:0xf// 000000026A54: 0B2928FA FF0000F9
	v_mul_f32_dpp v149, v249, v149 quad_perm:[1,1,1,1] row_mask:0xf bank_mask:0xf// 000000026A5C: 0B2B2AFA FF0055F9
	v_mul_f32_dpp v150, v249, v150 quad_perm:[2,2,2,2] row_mask:0xf bank_mask:0xf// 000000026A64: 0B2D2CFA FF00AAF9
	v_mul_f32_dpp v151, v249, v151 quad_perm:[3,3,3,3] row_mask:0xf bank_mask:0xf// 000000026A6C: 0B2F2EFA FF00FFF9
	v_mul_f32_dpp v152, v250, v152 quad_perm:[0,0,0,0] row_mask:0xf bank_mask:0xf// 000000026A74: 0B3130FA FF0000FA
	v_mul_f32_dpp v153, v250, v153 quad_perm:[1,1,1,1] row_mask:0xf bank_mask:0xf// 000000026A7C: 0B3332FA FF0055FA
	v_mul_f32_dpp v154, v250, v154 quad_perm:[2,2,2,2] row_mask:0xf bank_mask:0xf// 000000026A84: 0B3534FA FF00AAFA
	v_mul_f32_dpp v155, v250, v155 quad_perm:[3,3,3,3] row_mask:0xf bank_mask:0xf// 000000026A8C: 0B3736FA FF00FFFA
	v_mul_f32_dpp v156, v251, v156 quad_perm:[0,0,0,0] row_mask:0xf bank_mask:0xf// 000000026A94: 0B3938FA FF0000FB
	v_mul_f32_dpp v157, v251, v157 quad_perm:[1,1,1,1] row_mask:0xf bank_mask:0xf// 000000026A9C: 0B3B3AFA FF0055FB
	v_mul_f32_dpp v158, v251, v158 quad_perm:[2,2,2,2] row_mask:0xf bank_mask:0xf// 000000026AA4: 0B3D3CFA FF00AAFB
	v_mul_f32_dpp v159, v251, v159 quad_perm:[3,3,3,3] row_mask:0xf bank_mask:0xf// 000000026AAC: 0B3F3EFA FF00FFFB
	s_cmp_le_i32 s90, s89                                      // 000000026AB4: BF05595A
	s_cbranch_scc1 label_92A0                                  // 000000026AB8: BF850071
	v_mov_b32_e32 v66, 0xff800000                              // 000000026ABC: 7E8402FF FF800000
	s_mov_b32 s60, s90                                         // 000000026AC4: BEBC005A
	s_add_u32 s61, s89, 0xff                                   // 000000026AC8: 803DFF59 000000FF
	v_mov_b32_e32 v64, s61                                     // 000000026AD0: 7E80023D
	v_lshrrev_b32_e32 v240, 4, v0                              // 000000026AD4: 21E00084
	v_mul_i32_i24_e32 v240, 4, v240                            // 000000026AD8: 0DE1E084
	v_add_u32_e32 v240, s60, v240                              // 000000026ADC: 69E1E03C
	s_mov_b32 s61, 2                                           // 000000026AE0: BEBD0082
	s_mul_i32 s60, 16, s7                                      // 000000026AE4: 923C0790
	v_sub_u32_e64 v240, v240, s61                              // 000000026AE8: D13500F0 00007BF0
	v_add_u32_e32 v240, s60, v240                              // 000000026AF0: 69E1E03C
	v_add_u32_e32 v241, 1, v240                                // 000000026AF4: 69E3E081
	v_add_u32_e32 v242, 2, v240                                // 000000026AF8: 69E5E082
	v_add_u32_e32 v243, 3, v240                                // 000000026AFC: 69E7E083
	v_cmp_le_u32_e64 s[40:41], v240, v64                       // 000000026B00: D0CB0028 000281F0
	v_add_u32_e32 v240, 64, v240                               // 000000026B08: 69E1E0C0
	s_nop 0                                                    // 000000026B0C: BF800000
	v_cndmask_b32_e64 v144, v66, v144, s[40:41]                // 000000026B10: D1000090 00A32142
	v_cmp_le_u32_e64 s[40:41], v241, v64                       // 000000026B18: D0CB0028 000281F1
	v_add_u32_e32 v241, 64, v241                               // 000000026B20: 69E3E2C0
	s_nop 0                                                    // 000000026B24: BF800000
	v_cndmask_b32_e64 v145, v66, v145, s[40:41]                // 000000026B28: D1000091 00A32342
	v_cmp_le_u32_e64 s[40:41], v242, v64                       // 000000026B30: D0CB0028 000281F2
	v_add_u32_e32 v242, 64, v242                               // 000000026B38: 69E5E4C0
	s_nop 0                                                    // 000000026B3C: BF800000
	v_cndmask_b32_e64 v146, v66, v146, s[40:41]                // 000000026B40: D1000092 00A32542
	v_cmp_le_u32_e64 s[40:41], v243, v64                       // 000000026B48: D0CB0028 000281F3
	v_add_u32_e32 v243, 64, v243                               // 000000026B50: 69E7E6C0
	s_nop 0                                                    // 000000026B54: BF800000
	v_cndmask_b32_e64 v147, v66, v147, s[40:41]                // 000000026B58: D1000093 00A32742
	v_cmp_le_u32_e64 s[40:41], v240, v64                       // 000000026B60: D0CB0028 000281F0
	v_add_u32_e32 v240, 64, v240                               // 000000026B68: 69E1E0C0
	s_nop 0                                                    // 000000026B6C: BF800000
	v_cndmask_b32_e64 v148, v66, v148, s[40:41]                // 000000026B70: D1000094 00A32942
	v_cmp_le_u32_e64 s[40:41], v241, v64                       // 000000026B78: D0CB0028 000281F1
	v_add_u32_e32 v241, 64, v241                               // 000000026B80: 69E3E2C0
	s_nop 0                                                    // 000000026B84: BF800000
	v_cndmask_b32_e64 v149, v66, v149, s[40:41]                // 000000026B88: D1000095 00A32B42
	v_cmp_le_u32_e64 s[40:41], v242, v64                       // 000000026B90: D0CB0028 000281F2
	v_add_u32_e32 v242, 64, v242                               // 000000026B98: 69E5E4C0
	s_nop 0                                                    // 000000026B9C: BF800000
	v_cndmask_b32_e64 v150, v66, v150, s[40:41]                // 000000026BA0: D1000096 00A32D42
	v_cmp_le_u32_e64 s[40:41], v243, v64                       // 000000026BA8: D0CB0028 000281F3
	v_add_u32_e32 v243, 64, v243                               // 000000026BB0: 69E7E6C0
	s_nop 0                                                    // 000000026BB4: BF800000
	v_cndmask_b32_e64 v151, v66, v151, s[40:41]                // 000000026BB8: D1000097 00A32F42
	v_cmp_le_u32_e64 s[40:41], v240, v64                       // 000000026BC0: D0CB0028 000281F0
	v_add_u32_e32 v240, 64, v240                               // 000000026BC8: 69E1E0C0
	s_nop 0                                                    // 000000026BCC: BF800000
	v_cndmask_b32_e64 v152, v66, v152, s[40:41]                // 000000026BD0: D1000098 00A33142
	v_cmp_le_u32_e64 s[40:41], v241, v64                       // 000000026BD8: D0CB0028 000281F1
	v_add_u32_e32 v241, 64, v241                               // 000000026BE0: 69E3E2C0
	s_nop 0                                                    // 000000026BE4: BF800000
	v_cndmask_b32_e64 v153, v66, v153, s[40:41]                // 000000026BE8: D1000099 00A33342
	v_cmp_le_u32_e64 s[40:41], v242, v64                       // 000000026BF0: D0CB0028 000281F2
	v_add_u32_e32 v242, 64, v242                               // 000000026BF8: 69E5E4C0
	s_nop 0                                                    // 000000026BFC: BF800000
	v_cndmask_b32_e64 v154, v66, v154, s[40:41]                // 000000026C00: D100009A 00A33542
	v_cmp_le_u32_e64 s[40:41], v243, v64                       // 000000026C08: D0CB0028 000281F3
	v_add_u32_e32 v243, 64, v243                               // 000000026C10: 69E7E6C0
	s_nop 0                                                    // 000000026C14: BF800000
	v_cndmask_b32_e64 v155, v66, v155, s[40:41]                // 000000026C18: D100009B 00A33742
	v_cmp_le_u32_e64 s[40:41], v240, v64                       // 000000026C20: D0CB0028 000281F0
	v_add_u32_e32 v240, 64, v240                               // 000000026C28: 69E1E0C0
	s_nop 0                                                    // 000000026C2C: BF800000
	v_cndmask_b32_e64 v156, v66, v156, s[40:41]                // 000000026C30: D100009C 00A33942
	v_cmp_le_u32_e64 s[40:41], v241, v64                       // 000000026C38: D0CB0028 000281F1
	v_add_u32_e32 v241, 64, v241                               // 000000026C40: 69E3E2C0
	s_nop 0                                                    // 000000026C44: BF800000
	v_cndmask_b32_e64 v157, v66, v157, s[40:41]                // 000000026C48: D100009D 00A33B42
	v_cmp_le_u32_e64 s[40:41], v242, v64                       // 000000026C50: D0CB0028 000281F2
	v_add_u32_e32 v242, 64, v242                               // 000000026C58: 69E5E4C0
	s_nop 0                                                    // 000000026C5C: BF800000
	v_cndmask_b32_e64 v158, v66, v158, s[40:41]                // 000000026C60: D100009E 00A33D42
	v_cmp_le_u32_e64 s[40:41], v243, v64                       // 000000026C68: D0CB0028 000281F3
	v_add_u32_e32 v243, 64, v243                               // 000000026C70: 69E7E6C0
	s_nop 0                                                    // 000000026C74: BF800000
	v_cndmask_b32_e64 v159, v66, v159, s[40:41]                // 000000026C78: D100009F 00A33F42

0000000000026c80 <label_92A0>:
	v_mov_b32_e32 v48, v144                                    // 000000026C80: 7E600390
	v_max3_f32 v48, v144, v145, v48                            // 000000026C84: D1D30030 04C32390
	v_max3_f32 v48, v146, v147, v48                            // 000000026C8C: D1D30030 04C32792
	v_max3_f32 v48, v148, v149, v48                            // 000000026C94: D1D30030 04C32B94
	v_max3_f32 v48, v150, v151, v48                            // 000000026C9C: D1D30030 04C32F96
	v_max3_f32 v48, v152, v153, v48                            // 000000026CA4: D1D30030 04C33398
	v_max3_f32 v48, v154, v155, v48                            // 000000026CAC: D1D30030 04C3379A
	v_max3_f32 v48, v156, v157, v48                            // 000000026CB4: D1D30030 04C33B9C
	v_max3_f32 v48, v158, v159, v48                            // 000000026CBC: D1D30030 04C33F9E
	ds_write_b32 v8, v48 offset:16896                          // 000000026CC4: D81A4200 00003008
	v_mul_f32_e32 v224, v51, v224                              // 000000026CCC: 0BC1C133
	v_mul_f32_e32 v225, v51, v225                              // 000000026CD0: 0BC3C333
	v_mul_f32_e32 v226, v51, v226                              // 000000026CD4: 0BC5C533
	v_mul_f32_e32 v227, v51, v227                              // 000000026CD8: 0BC7C733
	v_mul_f32_e32 v228, v51, v228                              // 000000026CDC: 0BC9C933
	v_mul_f32_e32 v229, v51, v229                              // 000000026CE0: 0BCBCB33
	v_mul_f32_e32 v230, v51, v230                              // 000000026CE4: 0BCDCD33
	v_mul_f32_e32 v231, v51, v231                              // 000000026CE8: 0BCFCF33
	s_waitcnt lgkmcnt(0)                                       // 000000026CEC: BF8CC07F
	s_barrier                                                  // 000000026CF0: BF8A0000
	ds_read_b32 v64, v7 offset:16896                           // 000000026CF4: D86C4200 40000007
	ds_read_b32 v65, v7 offset:16960                           // 000000026CFC: D86C4240 41000007
	ds_read_b32 v66, v7 offset:17024                           // 000000026D04: D86C4280 42000007
	ds_read_b32 v67, v7 offset:17088                           // 000000026D0C: D86C42C0 43000007
	ds_read_b32 v68, v7 offset:17152                           // 000000026D14: D86C4300 44000007
	ds_read_b32 v69, v7 offset:17216                           // 000000026D1C: D86C4340 45000007
	ds_read_b32 v70, v7 offset:17280                           // 000000026D24: D86C4380 46000007
	ds_read_b32 v71, v7 offset:17344                           // 000000026D2C: D86C43C0 47000007
	ds_read_b32 v72, v7 offset:17408                           // 000000026D34: D86C4400 48000007
	ds_read_b32 v73, v7 offset:17472                           // 000000026D3C: D86C4440 49000007
	ds_read_b32 v74, v7 offset:17536                           // 000000026D44: D86C4480 4A000007
	ds_read_b32 v75, v7 offset:17600                           // 000000026D4C: D86C44C0 4B000007
	ds_read_b32 v76, v7 offset:17664                           // 000000026D54: D86C4500 4C000007
	ds_read_b32 v77, v7 offset:17728                           // 000000026D5C: D86C4540 4D000007
	ds_read_b32 v78, v7 offset:17792                           // 000000026D64: D86C4580 4E000007
	ds_read_b32 v79, v7 offset:17856                           // 000000026D6C: D86C45C0 4F000007
	v_cvt_f32_i32_e32 v192, v192                               // 000000026D74: 7F800BC0
	v_cvt_f32_i32_e32 v193, v193                               // 000000026D78: 7F820BC1
	v_cvt_f32_i32_e32 v194, v194                               // 000000026D7C: 7F840BC2
	v_cvt_f32_i32_e32 v195, v195                               // 000000026D80: 7F860BC3
	v_cvt_f32_i32_e32 v196, v196                               // 000000026D84: 7F880BC4
	v_cvt_f32_i32_e32 v197, v197                               // 000000026D88: 7F8A0BC5
	v_cvt_f32_i32_e32 v198, v198                               // 000000026D8C: 7F8C0BC6
	v_cvt_f32_i32_e32 v199, v199                               // 000000026D90: 7F8E0BC7
	v_mul_f32_e32 v192, v46, v192                              // 000000026D94: 0B81812E
	v_mul_f32_e32 v193, v46, v193                              // 000000026D98: 0B83832E
	v_mul_f32_e32 v194, v46, v194                              // 000000026D9C: 0B85852E
	v_mul_f32_e32 v195, v46, v195                              // 000000026DA0: 0B87872E
	v_mul_f32_e32 v196, v46, v196                              // 000000026DA4: 0B89892E
	v_mul_f32_e32 v197, v46, v197                              // 000000026DA8: 0B8B8B2E
	v_mul_f32_e32 v198, v46, v198                              // 000000026DAC: 0B8D8D2E
	v_mul_f32_e32 v199, v46, v199                              // 000000026DB0: 0B8F8F2E
	s_waitcnt lgkmcnt(0)                                       // 000000026DB4: BF8CC07F
	v_max3_f32 v48, v64, v65, v48                              // 000000026DB8: D1D30030 04C28340
	v_max3_f32 v48, v66, v67, v48                              // 000000026DC0: D1D30030 04C28742
	v_max3_f32 v48, v68, v69, v48                              // 000000026DC8: D1D30030 04C28B44
	v_max3_f32 v48, v70, v71, v48                              // 000000026DD0: D1D30030 04C28F46
	v_max3_f32 v48, v72, v73, v48                              // 000000026DD8: D1D30030 04C29348
	v_max3_f32 v48, v74, v75, v48                              // 000000026DE0: D1D30030 04C2974A
	v_max3_f32 v48, v76, v77, v48                              // 000000026DE8: D1D30030 04C29B4C
	v_max3_f32 v48, v78, v79, v48                              // 000000026DF0: D1D30030 04C29F4E
	v_mov_b32_e32 v64, 0xff800000                              // 000000026DF8: 7E8002FF FF800000
	v_cmp_eq_u32_e64 s[40:41], v64, v13                        // 000000026E00: D0CA0028 00021B40
	s_nop 1                                                    // 000000026E08: BF800001
	v_max_f32_e32 v15, v48, v13                                // 000000026E0C: 161E1B30
	v_mul_f32_e32 v53, s64, v15                                // 000000026E10: 0A6A1E40
	v_fma_f32 v144, v144, s64, -v53                            // 000000026E14: D1CB0090 84D48190
	v_fma_f32 v145, v145, s64, -v53                            // 000000026E1C: D1CB0091 84D48191
	v_fma_f32 v146, v146, s64, -v53                            // 000000026E24: D1CB0092 84D48192
	v_fma_f32 v147, v147, s64, -v53                            // 000000026E2C: D1CB0093 84D48193
	v_fma_f32 v148, v148, s64, -v53                            // 000000026E34: D1CB0094 84D48194
	v_fma_f32 v149, v149, s64, -v53                            // 000000026E3C: D1CB0095 84D48195
	v_fma_f32 v150, v150, s64, -v53                            // 000000026E44: D1CB0096 84D48196
	v_fma_f32 v151, v151, s64, -v53                            // 000000026E4C: D1CB0097 84D48197
	v_fma_f32 v152, v152, s64, -v53                            // 000000026E54: D1CB0098 84D48198
	v_fma_f32 v153, v153, s64, -v53                            // 000000026E5C: D1CB0099 84D48199
	v_fma_f32 v154, v154, s64, -v53                            // 000000026E64: D1CB009A 84D4819A
	v_fma_f32 v155, v155, s64, -v53                            // 000000026E6C: D1CB009B 84D4819B
	v_fma_f32 v156, v156, s64, -v53                            // 000000026E74: D1CB009C 84D4819C
	v_fma_f32 v157, v157, s64, -v53                            // 000000026E7C: D1CB009D 84D4819D
	v_fma_f32 v158, v158, s64, -v53                            // 000000026E84: D1CB009E 84D4819E
	v_fma_f32 v159, v159, s64, -v53                            // 000000026E8C: D1CB009F 84D4819F
	v_exp_f32_e32 v144, v144                                   // 000000026E94: 7F204190
	v_exp_f32_e32 v145, v145                                   // 000000026E98: 7F224191
	v_exp_f32_e32 v146, v146                                   // 000000026E9C: 7F244192
	v_exp_f32_e32 v147, v147                                   // 000000026EA0: 7F264193
	v_exp_f32_e32 v148, v148                                   // 000000026EA4: 7F284194
	v_exp_f32_e32 v149, v149                                   // 000000026EA8: 7F2A4195
	v_exp_f32_e32 v150, v150                                   // 000000026EAC: 7F2C4196
	v_exp_f32_e32 v151, v151                                   // 000000026EB0: 7F2E4197
	v_exp_f32_e32 v152, v152                                   // 000000026EB4: 7F304198
	v_exp_f32_e32 v153, v153                                   // 000000026EB8: 7F324199
	v_exp_f32_e32 v154, v154                                   // 000000026EBC: 7F34419A
	v_exp_f32_e32 v155, v155                                   // 000000026EC0: 7F36419B
	v_exp_f32_e32 v156, v156                                   // 000000026EC4: 7F38419C
	v_exp_f32_e32 v157, v157                                   // 000000026EC8: 7F3A419D
	v_exp_f32_e32 v158, v158                                   // 000000026ECC: 7F3C419E
	v_exp_f32_e32 v159, v159                                   // 000000026ED0: 7F3E419F
	v_mul_f32_dpp v240, v252, v144 quad_perm:[0,0,0,0] row_mask:0xf bank_mask:0xf// 000000026ED4: 0BE120FA FF0000FC
	v_mul_f32_dpp v241, v252, v145 quad_perm:[1,1,1,1] row_mask:0xf bank_mask:0xf// 000000026EDC: 0BE322FA FF0055FC
	v_mul_f32_dpp v242, v252, v146 quad_perm:[2,2,2,2] row_mask:0xf bank_mask:0xf// 000000026EE4: 0BE524FA FF00AAFC
	v_mul_f32_dpp v243, v252, v147 quad_perm:[3,3,3,3] row_mask:0xf bank_mask:0xf// 000000026EEC: 0BE726FA FF00FFFC
	v_mul_f32_dpp v244, v253, v148 quad_perm:[0,0,0,0] row_mask:0xf bank_mask:0xf// 000000026EF4: 0BE928FA FF0000FD
	v_mul_f32_dpp v245, v253, v149 quad_perm:[1,1,1,1] row_mask:0xf bank_mask:0xf// 000000026EFC: 0BEB2AFA FF0055FD
	v_mul_f32_dpp v246, v253, v150 quad_perm:[2,2,2,2] row_mask:0xf bank_mask:0xf// 000000026F04: 0BED2CFA FF00AAFD
	v_mul_f32_dpp v247, v253, v151 quad_perm:[3,3,3,3] row_mask:0xf bank_mask:0xf// 000000026F0C: 0BEF2EFA FF00FFFD
	v_mul_f32_dpp v248, v254, v152 quad_perm:[0,0,0,0] row_mask:0xf bank_mask:0xf// 000000026F14: 0BF130FA FF0000FE
	v_mul_f32_dpp v249, v254, v153 quad_perm:[1,1,1,1] row_mask:0xf bank_mask:0xf// 000000026F1C: 0BF332FA FF0055FE
	v_mul_f32_dpp v250, v254, v154 quad_perm:[2,2,2,2] row_mask:0xf bank_mask:0xf// 000000026F24: 0BF534FA FF00AAFE
	v_mul_f32_dpp v251, v254, v155 quad_perm:[3,3,3,3] row_mask:0xf bank_mask:0xf// 000000026F2C: 0BF736FA FF00FFFE
	v_mul_f32_dpp v252, v255, v156 quad_perm:[0,0,0,0] row_mask:0xf bank_mask:0xf// 000000026F34: 0BF938FA FF0000FF
	v_mul_f32_dpp v253, v255, v157 quad_perm:[1,1,1,1] row_mask:0xf bank_mask:0xf// 000000026F3C: 0BFB3AFA FF0055FF
	v_mul_f32_dpp v254, v255, v158 quad_perm:[2,2,2,2] row_mask:0xf bank_mask:0xf// 000000026F44: 0BFD3CFA FF00AAFF
	v_mul_f32_dpp v255, v255, v159 quad_perm:[3,3,3,3] row_mask:0xf bank_mask:0xf// 000000026F4C: 0BFF3EFA FF00FFFF
	v_mov_b32_e32 v48, 0x358637bd                              // 000000026F54: 7E6002FF 358637BD
	v_max3_f32 v48, |v240|, |v241|, v48                        // 000000026F5C: D1D30330 04C3E3F0
	v_max3_f32 v48, |v242|, |v243|, v48                        // 000000026F64: D1D30330 04C3E7F2
	v_max3_f32 v48, |v244|, |v245|, v48                        // 000000026F6C: D1D30330 04C3EBF4
	v_max3_f32 v48, |v246|, |v247|, v48                        // 000000026F74: D1D30330 04C3EFF6
	v_max3_f32 v48, |v248|, |v249|, v48                        // 000000026F7C: D1D30330 04C3F3F8
	v_max3_f32 v48, |v250|, |v251|, v48                        // 000000026F84: D1D30330 04C3F7FA
	v_max3_f32 v48, |v252|, |v253|, v48                        // 000000026F8C: D1D30330 04C3FBFC
	v_max3_f32 v48, |v254|, |v255|, v48                        // 000000026F94: D1D30330 04C3FFFE
	ds_write_b32 v8, v48 offset:20992                          // 000000026F9C: D81A5200 00003008
	v_sub_f32_e32 v51, v13, v15                                // 000000026FA4: 04661F0D
	v_cndmask_b32_e64 v51, v51, 0, s[40:41]                    // 000000026FA8: D1000033 00A10133
	v_mov_b32_e32 v13, v15                                     // 000000026FB0: 7E1A030F
	v_mul_f32_e32 v51, s64, v51                                // 000000026FB4: 0A666640
	v_exp_f32_e32 v51, v51                                     // 000000026FB8: 7E664133
	s_waitcnt lgkmcnt(0)                                       // 000000026FBC: BF8CC07F
	s_barrier                                                  // 000000026FC0: BF8A0000
	ds_read_b32 v64, v7 offset:20992                           // 000000026FC4: D86C5200 40000007
	ds_read_b32 v65, v7 offset:21056                           // 000000026FCC: D86C5240 41000007
	ds_read_b32 v66, v7 offset:21120                           // 000000026FD4: D86C5280 42000007
	ds_read_b32 v67, v7 offset:21184                           // 000000026FDC: D86C52C0 43000007
	ds_read_b32 v68, v7 offset:21248                           // 000000026FE4: D86C5300 44000007
	ds_read_b32 v69, v7 offset:21312                           // 000000026FEC: D86C5340 45000007
	ds_read_b32 v70, v7 offset:21376                           // 000000026FF4: D86C5380 46000007
	ds_read_b32 v71, v7 offset:21440                           // 000000026FFC: D86C53C0 47000007
	ds_read_b32 v72, v7 offset:21504                           // 000000027004: D86C5400 48000007
	ds_read_b32 v73, v7 offset:21568                           // 00000002700C: D86C5440 49000007
	ds_read_b32 v74, v7 offset:21632                           // 000000027014: D86C5480 4A000007
	ds_read_b32 v75, v7 offset:21696                           // 00000002701C: D86C54C0 4B000007
	ds_read_b32 v76, v7 offset:21760                           // 000000027024: D86C5500 4C000007
	ds_read_b32 v77, v7 offset:21824                           // 00000002702C: D86C5540 4D000007
	ds_read_b32 v78, v7 offset:21888                           // 000000027034: D86C5580 4E000007
	ds_read_b32 v79, v7 offset:21952                           // 00000002703C: D86C55C0 4F000007
	v_mul_f32_e32 v40, v51, v40                                // 000000027044: 0A505133
	v_mov_b32_e32 v15, v144                                    // 000000027048: 7E1E0390
	v_add_f32_e32 v15, v145, v15                               // 00000002704C: 021E1F91
	v_add_f32_e32 v15, v146, v15                               // 000000027050: 021E1F92
	v_add_f32_e32 v15, v147, v15                               // 000000027054: 021E1F93
	v_add_f32_e32 v15, v148, v15                               // 000000027058: 021E1F94
	v_add_f32_e32 v15, v149, v15                               // 00000002705C: 021E1F95
	v_add_f32_e32 v15, v150, v15                               // 000000027060: 021E1F96
	v_add_f32_e32 v15, v151, v15                               // 000000027064: 021E1F97
	v_add_f32_e32 v15, v152, v15                               // 000000027068: 021E1F98
	v_add_f32_e32 v15, v153, v15                               // 00000002706C: 021E1F99
	v_add_f32_e32 v15, v154, v15                               // 000000027070: 021E1F9A
	v_add_f32_e32 v15, v155, v15                               // 000000027074: 021E1F9B
	v_add_f32_e32 v15, v156, v15                               // 000000027078: 021E1F9C
	v_add_f32_e32 v15, v157, v15                               // 00000002707C: 021E1F9D
	v_add_f32_e32 v15, v158, v15                               // 000000027080: 021E1F9E
	v_add_f32_e32 v15, v159, v15                               // 000000027084: 021E1F9F
	v_add_f32_e32 v40, v15, v40                                // 000000027088: 0250510F
	s_waitcnt lgkmcnt(0)                                       // 00000002708C: BF8CC07F
	v_max3_f32 v48, |v64|, |v65|, v48                          // 000000027090: D1D30330 04C28340
	v_max3_f32 v48, |v66|, |v67|, v48                          // 000000027098: D1D30330 04C28742
	v_max3_f32 v48, |v68|, |v69|, v48                          // 0000000270A0: D1D30330 04C28B44
	v_max3_f32 v48, |v70|, |v71|, v48                          // 0000000270A8: D1D30330 04C28F46
	v_max3_f32 v48, |v72|, |v73|, v48                          // 0000000270B0: D1D30330 04C29348
	v_max3_f32 v48, |v74|, |v75|, v48                          // 0000000270B8: D1D30330 04C2974A
	v_max3_f32 v48, |v76|, |v77|, v48                          // 0000000270C0: D1D30330 04C29B4C
	v_max3_f32 v48, |v78|, |v79|, v48                          // 0000000270C8: D1D30330 04C29F4E
	s_nop 2                                                    // 0000000270D0: BF800002
	v_rcp_f32_e32 v48, v48                                     // 0000000270D4: 7E604530
	s_nop 1                                                    // 0000000270D8: BF800001
	v_mul_f32_e32 v48, 0x42fe0000, v48                         // 0000000270DC: 0A6060FF 42FE0000
	v_mul_f32_e32 v144, v48, v240                              // 0000000270E4: 0B21E130
	v_mul_f32_e32 v145, v48, v241                              // 0000000270E8: 0B23E330
	v_mul_f32_e32 v146, v48, v242                              // 0000000270EC: 0B25E530
	v_mul_f32_e32 v147, v48, v243                              // 0000000270F0: 0B27E730
	v_mul_f32_e32 v148, v48, v244                              // 0000000270F4: 0B29E930
	v_mul_f32_e32 v149, v48, v245                              // 0000000270F8: 0B2BEB30
	v_mul_f32_e32 v150, v48, v246                              // 0000000270FC: 0B2DED30
	v_mul_f32_e32 v151, v48, v247                              // 000000027100: 0B2FEF30
	v_mul_f32_e32 v152, v48, v248                              // 000000027104: 0B31F130
	v_mul_f32_e32 v153, v48, v249                              // 000000027108: 0B33F330
	v_mul_f32_e32 v154, v48, v250                              // 00000002710C: 0B35F530
	v_mul_f32_e32 v155, v48, v251                              // 000000027110: 0B37F730
	v_mul_f32_e32 v156, v48, v252                              // 000000027114: 0B39F930
	v_mul_f32_e32 v157, v48, v253                              // 000000027118: 0B3BFB30
	v_mul_f32_e32 v158, v48, v254                              // 00000002711C: 0B3DFD30
	v_mul_f32_e32 v159, v48, v255                              // 000000027120: 0B3FFF30
	v_cvt_i32_f32_e32 v144, v144                               // 000000027124: 7F201190
	v_cvt_i32_f32_e32 v145, v145                               // 000000027128: 7F221191
	v_cvt_i32_f32_e32 v146, v146                               // 00000002712C: 7F241192
	v_cvt_i32_f32_e32 v147, v147                               // 000000027130: 7F261193
	v_cvt_i32_f32_e32 v148, v148                               // 000000027134: 7F281194
	v_cvt_i32_f32_e32 v149, v149                               // 000000027138: 7F2A1195
	v_cvt_i32_f32_e32 v150, v150                               // 00000002713C: 7F2C1196
	v_cvt_i32_f32_e32 v151, v151                               // 000000027140: 7F2E1197
	v_cvt_i32_f32_e32 v152, v152                               // 000000027144: 7F301198
	v_cvt_i32_f32_e32 v153, v153                               // 000000027148: 7F321199
	v_cvt_i32_f32_e32 v154, v154                               // 00000002714C: 7F34119A
	v_cvt_i32_f32_e32 v155, v155                               // 000000027150: 7F36119B
	v_cvt_i32_f32_e32 v156, v156                               // 000000027154: 7F38119C
	v_cvt_i32_f32_e32 v157, v157                               // 000000027158: 7F3A119D
	v_cvt_i32_f32_e32 v158, v158                               // 00000002715C: 7F3C119E
	v_cvt_i32_f32_e32 v159, v159                               // 000000027160: 7F3E119F
	v_perm_b32 v144, v145, v144, s53                           // 000000027164: D1ED0090 00D72191
	v_perm_b32 v144, v146, v144, s54                           // 00000002716C: D1ED0090 00DB2192
	v_perm_b32 v144, v147, v144, s55                           // 000000027174: D1ED0090 00DF2193
	v_perm_b32 v145, v149, v148, s53                           // 00000002717C: D1ED0091 00D72995
	v_perm_b32 v145, v150, v145, s54                           // 000000027184: D1ED0091 00DB2396
	v_perm_b32 v145, v151, v145, s55                           // 00000002718C: D1ED0091 00DF2397
	v_perm_b32 v146, v153, v152, s53                           // 000000027194: D1ED0092 00D73199
	v_perm_b32 v146, v154, v146, s54                           // 00000002719C: D1ED0092 00DB259A
	v_perm_b32 v146, v155, v146, s55                           // 0000000271A4: D1ED0092 00DF259B
	v_perm_b32 v147, v157, v156, s53                           // 0000000271AC: D1ED0093 00D7399D
	v_perm_b32 v147, v158, v147, s54                           // 0000000271B4: D1ED0093 00DB279E
	v_perm_b32 v147, v159, v147, s55                           // 0000000271BC: D1ED0093 00DF279F
	ds_write_b32 v10, v144 offset:33280                        // 0000000271C4: D81A8200 0000900A
	ds_write_b32 v10, v145 offset:34304                        // 0000000271CC: D81A8600 0000910A
	ds_write_b32 v10, v146 offset:35328                        // 0000000271D4: D81A8A00 0000920A
	ds_write_b32 v10, v147 offset:36352                        // 0000000271DC: D81A8E00 0000930A
	v_add_f32_e32 v224, v224, v192                             // 0000000271E4: 03C181E0
	v_add_f32_e32 v225, v225, v193                             // 0000000271E8: 03C383E1
	v_add_f32_e32 v226, v226, v194                             // 0000000271EC: 03C585E2
	v_add_f32_e32 v227, v227, v195                             // 0000000271F0: 03C787E3
	v_add_f32_e32 v228, v228, v196                             // 0000000271F4: 03C989E4
	v_add_f32_e32 v229, v229, v197                             // 0000000271F8: 03CB8BE5
	v_add_f32_e32 v230, v230, v198                             // 0000000271FC: 03CD8DE6
	v_add_f32_e32 v231, v231, v199                             // 000000027200: 03CF8FE7
	v_rcp_f32_e32 v46, v48                                     // 000000027204: 7E5C4530
	s_waitcnt lgkmcnt(0)                                       // 000000027208: BF8CC07F
	s_barrier                                                  // 00000002720C: BF8A0000
	ds_read_b64 v[144:145], v9 offset:33280                    // 000000027210: D8EC8200 90000009
	ds_read_b64 v[146:147], v9 offset:33408                    // 000000027218: D8EC8280 92000009
	ds_read_b64 v[148:149], v9 offset:34304                    // 000000027220: D8EC8600 94000009
	ds_read_b64 v[150:151], v9 offset:34432                    // 000000027228: D8EC8680 96000009
	ds_read_b64 v[152:153], v9 offset:35328                    // 000000027230: D8EC8A00 98000009
	ds_read_b64 v[154:155], v9 offset:35456                    // 000000027238: D8EC8A80 9A000009
	ds_read_b64 v[156:157], v9 offset:36352                    // 000000027240: D8EC8E00 9C000009
	ds_read_b64 v[158:159], v9 offset:36480                    // 000000027248: D8EC8E80 9E000009
	v_mov_b32_dpp v64, v42 row_shr:4 row_mask:0xf bank_mask:0xf// 000000027250: 7E8002FA FF01142A
	v_mov_b32_dpp v65, v42 row_shl:4 row_mask:0xf bank_mask:0xf// 000000027258: 7E8202FA FF01042A
	v_cndmask_b32_e64 v248, v42, v64, s[44:45]                 // 000000027260: D10000F8 00B2812A
	v_cndmask_b32_e64 v249, v65, v42, s[44:45]                 // 000000027268: D10000F9 00B25541
	v_mov_b32_dpp v64, v248 row_shr:8 row_mask:0xf bank_mask:0xf// 000000027270: 7E8002FA FF0118F8
	v_mov_b32_dpp v65, v248 row_shl:8 row_mask:0xf bank_mask:0xf// 000000027278: 7E8202FA FF0108F8
	v_mov_b32_dpp v66, v249 row_shr:8 row_mask:0xf bank_mask:0xf// 000000027280: 7E8402FA FF0118F9
	v_mov_b32_dpp v67, v249 row_shl:8 row_mask:0xf bank_mask:0xf// 000000027288: 7E8602FA FF0108F9
	v_mov_b32_e32 v68, v248                                    // 000000027290: 7E8803F8
	v_mov_b32_e32 v69, v249                                    // 000000027294: 7E8A03F9
	v_cndmask_b32_e64 v248, v68, v64, s[42:43]                 // 000000027298: D10000F8 00AA8144
	v_cndmask_b32_e64 v250, v68, v65, s[78:79]                 // 0000000272A0: D10000FA 013A8344
	v_cndmask_b32_e64 v249, v69, v66, s[42:43]                 // 0000000272A8: D10000F9 00AA8545
	v_cndmask_b32_e64 v251, v69, v67, s[78:79]                 // 0000000272B0: D10000FB 013A8745
	v_mov_b32_dpp v64, v57 row_shr:4 row_mask:0xf bank_mask:0xf// 0000000272B8: 7E8002FA FF011439
	v_mov_b32_dpp v65, v57 row_shl:4 row_mask:0xf bank_mask:0xf// 0000000272C0: 7E8202FA FF010439
	v_cndmask_b32_e64 v252, v57, v64, s[44:45]                 // 0000000272C8: D10000FC 00B28139
	v_cndmask_b32_e64 v253, v65, v57, s[44:45]                 // 0000000272D0: D10000FD 00B27341
	v_mov_b32_dpp v64, v252 row_shr:8 row_mask:0xf bank_mask:0xf// 0000000272D8: 7E8002FA FF0118FC
	v_mov_b32_dpp v65, v252 row_shl:8 row_mask:0xf bank_mask:0xf// 0000000272E0: 7E8202FA FF0108FC
	v_mov_b32_dpp v66, v253 row_shr:8 row_mask:0xf bank_mask:0xf// 0000000272E8: 7E8402FA FF0118FD
	v_mov_b32_dpp v67, v253 row_shl:8 row_mask:0xf bank_mask:0xf// 0000000272F0: 7E8602FA FF0108FD
	v_mov_b32_e32 v68, v252                                    // 0000000272F8: 7E8803FC
	v_mov_b32_e32 v69, v253                                    // 0000000272FC: 7E8A03FD
	v_cndmask_b32_e64 v252, v68, v64, s[42:43]                 // 000000027300: D10000FC 00AA8144
	v_cndmask_b32_e64 v254, v68, v65, s[78:79]                 // 000000027308: D10000FE 013A8344
	v_cndmask_b32_e64 v253, v69, v66, s[42:43]                 // 000000027310: D10000FD 00AA8545
	v_cndmask_b32_e64 v255, v69, v67, s[78:79]                 // 000000027318: D10000FF 013A8745
	v_cvt_f32_i32_e32 v160, v160                               // 000000027320: 7F400BA0
	v_cvt_f32_i32_e32 v161, v161                               // 000000027324: 7F420BA1
	v_cvt_f32_i32_e32 v162, v162                               // 000000027328: 7F440BA2
	v_cvt_f32_i32_e32 v163, v163                               // 00000002732C: 7F460BA3
	v_cvt_f32_i32_e32 v164, v164                               // 000000027330: 7F480BA4
	v_cvt_f32_i32_e32 v165, v165                               // 000000027334: 7F4A0BA5
	v_cvt_f32_i32_e32 v166, v166                               // 000000027338: 7F4C0BA6
	v_cvt_f32_i32_e32 v167, v167                               // 00000002733C: 7F4E0BA7
	v_cvt_f32_i32_e32 v168, v168                               // 000000027340: 7F500BA8
	v_cvt_f32_i32_e32 v169, v169                               // 000000027344: 7F520BA9
	v_cvt_f32_i32_e32 v170, v170                               // 000000027348: 7F540BAA
	v_cvt_f32_i32_e32 v171, v171                               // 00000002734C: 7F560BAB
	v_cvt_f32_i32_e32 v172, v172                               // 000000027350: 7F580BAC
	v_cvt_f32_i32_e32 v173, v173                               // 000000027354: 7F5A0BAD
	v_cvt_f32_i32_e32 v174, v174                               // 000000027358: 7F5C0BAE
	v_cvt_f32_i32_e32 v175, v175                               // 00000002735C: 7F5E0BAF
	v_mul_f32_e32 v160, v21, v160                              // 000000027360: 0B414115
	v_mul_f32_e32 v161, v21, v161                              // 000000027364: 0B434315
	v_mul_f32_e32 v162, v21, v162                              // 000000027368: 0B454515
	v_mul_f32_e32 v163, v21, v163                              // 00000002736C: 0B474715
	v_mul_f32_e32 v164, v21, v164                              // 000000027370: 0B494915
	v_mul_f32_e32 v165, v21, v165                              // 000000027374: 0B4B4B15
	v_mul_f32_e32 v166, v21, v166                              // 000000027378: 0B4D4D15
	v_mul_f32_e32 v167, v21, v167                              // 00000002737C: 0B4F4F15
	v_mul_f32_e32 v168, v21, v168                              // 000000027380: 0B515115
	v_mul_f32_e32 v169, v21, v169                              // 000000027384: 0B535315
	v_mul_f32_e32 v170, v21, v170                              // 000000027388: 0B555515
	v_mul_f32_e32 v171, v21, v171                              // 00000002738C: 0B575715
	v_mul_f32_e32 v172, v21, v172                              // 000000027390: 0B595915
	v_mul_f32_e32 v173, v21, v173                              // 000000027394: 0B5B5B15
	v_mul_f32_e32 v174, v21, v174                              // 000000027398: 0B5D5D15
	v_mul_f32_e32 v175, v21, v175                              // 00000002739C: 0B5F5F15
	v_mul_f32_dpp v160, v248, v160 quad_perm:[0,0,0,0] row_mask:0xf bank_mask:0xf// 0000000273A0: 0B4140FA FF0000F8
	v_mul_f32_dpp v161, v248, v161 quad_perm:[1,1,1,1] row_mask:0xf bank_mask:0xf// 0000000273A8: 0B4342FA FF0055F8
	v_mul_f32_dpp v162, v248, v162 quad_perm:[2,2,2,2] row_mask:0xf bank_mask:0xf// 0000000273B0: 0B4544FA FF00AAF8
	v_mul_f32_dpp v163, v248, v163 quad_perm:[3,3,3,3] row_mask:0xf bank_mask:0xf// 0000000273B8: 0B4746FA FF00FFF8
	v_mul_f32_dpp v164, v249, v164 quad_perm:[0,0,0,0] row_mask:0xf bank_mask:0xf// 0000000273C0: 0B4948FA FF0000F9
	v_mul_f32_dpp v165, v249, v165 quad_perm:[1,1,1,1] row_mask:0xf bank_mask:0xf// 0000000273C8: 0B4B4AFA FF0055F9
	v_mul_f32_dpp v166, v249, v166 quad_perm:[2,2,2,2] row_mask:0xf bank_mask:0xf// 0000000273D0: 0B4D4CFA FF00AAF9
	v_mul_f32_dpp v167, v249, v167 quad_perm:[3,3,3,3] row_mask:0xf bank_mask:0xf// 0000000273D8: 0B4F4EFA FF00FFF9
	v_mul_f32_dpp v168, v250, v168 quad_perm:[0,0,0,0] row_mask:0xf bank_mask:0xf// 0000000273E0: 0B5150FA FF0000FA
	v_mul_f32_dpp v169, v250, v169 quad_perm:[1,1,1,1] row_mask:0xf bank_mask:0xf// 0000000273E8: 0B5352FA FF0055FA
	v_mul_f32_dpp v170, v250, v170 quad_perm:[2,2,2,2] row_mask:0xf bank_mask:0xf// 0000000273F0: 0B5554FA FF00AAFA
	v_mul_f32_dpp v171, v250, v171 quad_perm:[3,3,3,3] row_mask:0xf bank_mask:0xf// 0000000273F8: 0B5756FA FF00FFFA
	v_mul_f32_dpp v172, v251, v172 quad_perm:[0,0,0,0] row_mask:0xf bank_mask:0xf// 000000027400: 0B5958FA FF0000FB
	v_mul_f32_dpp v173, v251, v173 quad_perm:[1,1,1,1] row_mask:0xf bank_mask:0xf// 000000027408: 0B5B5AFA FF0055FB
	v_mul_f32_dpp v174, v251, v174 quad_perm:[2,2,2,2] row_mask:0xf bank_mask:0xf// 000000027410: 0B5D5CFA FF00AAFB
	v_mul_f32_dpp v175, v251, v175 quad_perm:[3,3,3,3] row_mask:0xf bank_mask:0xf// 000000027418: 0B5F5EFA FF00FFFB
	s_cmp_le_i32 s90, s89                                      // 000000027420: BF05595A
	s_cbranch_scc1 label_94FB                                  // 000000027424: BF850071
	v_mov_b32_e32 v66, 0xff800000                              // 000000027428: 7E8402FF FF800000
	s_mov_b32 s60, s90                                         // 000000027430: BEBC005A
	s_add_u32 s61, s89, 0xff                                   // 000000027434: 803DFF59 000000FF
	v_mov_b32_e32 v64, s61                                     // 00000002743C: 7E80023D
	v_lshrrev_b32_e32 v240, 4, v0                              // 000000027440: 21E00084
	v_mul_i32_i24_e32 v240, 4, v240                            // 000000027444: 0DE1E084
	v_add_u32_e32 v240, s60, v240                              // 000000027448: 69E1E03C
	s_mov_b32 s61, 3                                           // 00000002744C: BEBD0083
	s_mul_i32 s60, 16, s7                                      // 000000027450: 923C0790
	v_sub_u32_e64 v240, v240, s61                              // 000000027454: D13500F0 00007BF0
	v_add_u32_e32 v240, s60, v240                              // 00000002745C: 69E1E03C
	v_add_u32_e32 v241, 1, v240                                // 000000027460: 69E3E081
	v_add_u32_e32 v242, 2, v240                                // 000000027464: 69E5E082
	v_add_u32_e32 v243, 3, v240                                // 000000027468: 69E7E083
	v_cmp_le_u32_e64 s[40:41], v240, v64                       // 00000002746C: D0CB0028 000281F0
	v_add_u32_e32 v240, 64, v240                               // 000000027474: 69E1E0C0
	s_nop 0                                                    // 000000027478: BF800000
	v_cndmask_b32_e64 v160, v66, v160, s[40:41]                // 00000002747C: D10000A0 00A34142
	v_cmp_le_u32_e64 s[40:41], v241, v64                       // 000000027484: D0CB0028 000281F1
	v_add_u32_e32 v241, 64, v241                               // 00000002748C: 69E3E2C0
	s_nop 0                                                    // 000000027490: BF800000
	v_cndmask_b32_e64 v161, v66, v161, s[40:41]                // 000000027494: D10000A1 00A34342
	v_cmp_le_u32_e64 s[40:41], v242, v64                       // 00000002749C: D0CB0028 000281F2
	v_add_u32_e32 v242, 64, v242                               // 0000000274A4: 69E5E4C0
	s_nop 0                                                    // 0000000274A8: BF800000
	v_cndmask_b32_e64 v162, v66, v162, s[40:41]                // 0000000274AC: D10000A2 00A34542
	v_cmp_le_u32_e64 s[40:41], v243, v64                       // 0000000274B4: D0CB0028 000281F3
	v_add_u32_e32 v243, 64, v243                               // 0000000274BC: 69E7E6C0
	s_nop 0                                                    // 0000000274C0: BF800000
	v_cndmask_b32_e64 v163, v66, v163, s[40:41]                // 0000000274C4: D10000A3 00A34742
	v_cmp_le_u32_e64 s[40:41], v240, v64                       // 0000000274CC: D0CB0028 000281F0
	v_add_u32_e32 v240, 64, v240                               // 0000000274D4: 69E1E0C0
	s_nop 0                                                    // 0000000274D8: BF800000
	v_cndmask_b32_e64 v164, v66, v164, s[40:41]                // 0000000274DC: D10000A4 00A34942
	v_cmp_le_u32_e64 s[40:41], v241, v64                       // 0000000274E4: D0CB0028 000281F1
	v_add_u32_e32 v241, 64, v241                               // 0000000274EC: 69E3E2C0
	s_nop 0                                                    // 0000000274F0: BF800000
	v_cndmask_b32_e64 v165, v66, v165, s[40:41]                // 0000000274F4: D10000A5 00A34B42
	v_cmp_le_u32_e64 s[40:41], v242, v64                       // 0000000274FC: D0CB0028 000281F2
	v_add_u32_e32 v242, 64, v242                               // 000000027504: 69E5E4C0
	s_nop 0                                                    // 000000027508: BF800000
	v_cndmask_b32_e64 v166, v66, v166, s[40:41]                // 00000002750C: D10000A6 00A34D42
	v_cmp_le_u32_e64 s[40:41], v243, v64                       // 000000027514: D0CB0028 000281F3
	v_add_u32_e32 v243, 64, v243                               // 00000002751C: 69E7E6C0
	s_nop 0                                                    // 000000027520: BF800000
	v_cndmask_b32_e64 v167, v66, v167, s[40:41]                // 000000027524: D10000A7 00A34F42
	v_cmp_le_u32_e64 s[40:41], v240, v64                       // 00000002752C: D0CB0028 000281F0
	v_add_u32_e32 v240, 64, v240                               // 000000027534: 69E1E0C0
	s_nop 0                                                    // 000000027538: BF800000
	v_cndmask_b32_e64 v168, v66, v168, s[40:41]                // 00000002753C: D10000A8 00A35142
	v_cmp_le_u32_e64 s[40:41], v241, v64                       // 000000027544: D0CB0028 000281F1
	v_add_u32_e32 v241, 64, v241                               // 00000002754C: 69E3E2C0
	s_nop 0                                                    // 000000027550: BF800000
	v_cndmask_b32_e64 v169, v66, v169, s[40:41]                // 000000027554: D10000A9 00A35342
	v_cmp_le_u32_e64 s[40:41], v242, v64                       // 00000002755C: D0CB0028 000281F2
	v_add_u32_e32 v242, 64, v242                               // 000000027564: 69E5E4C0
	s_nop 0                                                    // 000000027568: BF800000
	v_cndmask_b32_e64 v170, v66, v170, s[40:41]                // 00000002756C: D10000AA 00A35542
	v_cmp_le_u32_e64 s[40:41], v243, v64                       // 000000027574: D0CB0028 000281F3
	v_add_u32_e32 v243, 64, v243                               // 00000002757C: 69E7E6C0
	s_nop 0                                                    // 000000027580: BF800000
	v_cndmask_b32_e64 v171, v66, v171, s[40:41]                // 000000027584: D10000AB 00A35742
	v_cmp_le_u32_e64 s[40:41], v240, v64                       // 00000002758C: D0CB0028 000281F0
	v_add_u32_e32 v240, 64, v240                               // 000000027594: 69E1E0C0
	s_nop 0                                                    // 000000027598: BF800000
	v_cndmask_b32_e64 v172, v66, v172, s[40:41]                // 00000002759C: D10000AC 00A35942
	v_cmp_le_u32_e64 s[40:41], v241, v64                       // 0000000275A4: D0CB0028 000281F1
	v_add_u32_e32 v241, 64, v241                               // 0000000275AC: 69E3E2C0
	s_nop 0                                                    // 0000000275B0: BF800000
	v_cndmask_b32_e64 v173, v66, v173, s[40:41]                // 0000000275B4: D10000AD 00A35B42
	v_cmp_le_u32_e64 s[40:41], v242, v64                       // 0000000275BC: D0CB0028 000281F2
	v_add_u32_e32 v242, 64, v242                               // 0000000275C4: 69E5E4C0
	s_nop 0                                                    // 0000000275C8: BF800000
	v_cndmask_b32_e64 v174, v66, v174, s[40:41]                // 0000000275CC: D10000AE 00A35D42
	v_cmp_le_u32_e64 s[40:41], v243, v64                       // 0000000275D4: D0CB0028 000281F3
	v_add_u32_e32 v243, 64, v243                               // 0000000275DC: 69E7E6C0
	s_nop 0                                                    // 0000000275E0: BF800000
	v_cndmask_b32_e64 v175, v66, v175, s[40:41]                // 0000000275E4: D10000AF 00A35F42

00000000000275ec <label_94FB>:
	s_add_u32 s90, s91, s90                                    // 0000000275EC: 805A5A5B
	v_mov_b32_e32 v48, v160                                    // 0000000275F0: 7E6003A0
	v_max3_f32 v48, v160, v161, v48                            // 0000000275F4: D1D30030 04C343A0
	v_max3_f32 v48, v162, v163, v48                            // 0000000275FC: D1D30030 04C347A2
	v_max3_f32 v48, v164, v165, v48                            // 000000027604: D1D30030 04C34BA4
	v_max3_f32 v48, v166, v167, v48                            // 00000002760C: D1D30030 04C34FA6
	v_max3_f32 v48, v168, v169, v48                            // 000000027614: D1D30030 04C353A8
	v_max3_f32 v48, v170, v171, v48                            // 00000002761C: D1D30030 04C357AA
	v_max3_f32 v48, v172, v173, v48                            // 000000027624: D1D30030 04C35BAC
	v_max3_f32 v48, v174, v175, v48                            // 00000002762C: D1D30030 04C35FAE
	ds_write_b32 v8, v48 offset:16896                          // 000000027634: D81A4200 00003008
	v_mul_f32_e32 v232, v52, v232                              // 00000002763C: 0BD1D134
	v_mul_f32_e32 v233, v52, v233                              // 000000027640: 0BD3D334
	v_mul_f32_e32 v234, v52, v234                              // 000000027644: 0BD5D534
	v_mul_f32_e32 v235, v52, v235                              // 000000027648: 0BD7D734
	v_mul_f32_e32 v236, v52, v236                              // 00000002764C: 0BD9D934
	v_mul_f32_e32 v237, v52, v237                              // 000000027650: 0BDBDB34
	v_mul_f32_e32 v238, v52, v238                              // 000000027654: 0BDDDD34
	v_mul_f32_e32 v239, v52, v239                              // 000000027658: 0BDFDF34
	s_waitcnt lgkmcnt(0)                                       // 00000002765C: BF8CC07F
	s_barrier                                                  // 000000027660: BF8A0000
	ds_read_b32 v64, v7 offset:16896                           // 000000027664: D86C4200 40000007
	ds_read_b32 v65, v7 offset:16960                           // 00000002766C: D86C4240 41000007
	ds_read_b32 v66, v7 offset:17024                           // 000000027674: D86C4280 42000007
	ds_read_b32 v67, v7 offset:17088                           // 00000002767C: D86C42C0 43000007
	ds_read_b32 v68, v7 offset:17152                           // 000000027684: D86C4300 44000007
	ds_read_b32 v69, v7 offset:17216                           // 00000002768C: D86C4340 45000007
	ds_read_b32 v70, v7 offset:17280                           // 000000027694: D86C4380 46000007
	ds_read_b32 v71, v7 offset:17344                           // 00000002769C: D86C43C0 47000007
	ds_read_b32 v72, v7 offset:17408                           // 0000000276A4: D86C4400 48000007
	ds_read_b32 v73, v7 offset:17472                           // 0000000276AC: D86C4440 49000007
	ds_read_b32 v74, v7 offset:17536                           // 0000000276B4: D86C4480 4A000007
	ds_read_b32 v75, v7 offset:17600                           // 0000000276BC: D86C44C0 4B000007
	ds_read_b32 v76, v7 offset:17664                           // 0000000276C4: D86C4500 4C000007
	ds_read_b32 v77, v7 offset:17728                           // 0000000276CC: D86C4540 4D000007
	ds_read_b32 v78, v7 offset:17792                           // 0000000276D4: D86C4580 4E000007
	ds_read_b32 v79, v7 offset:17856                           // 0000000276DC: D86C45C0 4F000007
	v_cvt_f32_i32_e32 v200, v200                               // 0000000276E4: 7F900BC8
	v_cvt_f32_i32_e32 v201, v201                               // 0000000276E8: 7F920BC9
	v_cvt_f32_i32_e32 v202, v202                               // 0000000276EC: 7F940BCA
	v_cvt_f32_i32_e32 v203, v203                               // 0000000276F0: 7F960BCB
	v_cvt_f32_i32_e32 v204, v204                               // 0000000276F4: 7F980BCC
	v_cvt_f32_i32_e32 v205, v205                               // 0000000276F8: 7F9A0BCD
	v_cvt_f32_i32_e32 v206, v206                               // 0000000276FC: 7F9C0BCE
	v_cvt_f32_i32_e32 v207, v207                               // 000000027700: 7F9E0BCF
	v_mul_f32_e32 v200, v47, v200                              // 000000027704: 0B91912F
	v_mul_f32_e32 v201, v47, v201                              // 000000027708: 0B93932F
	v_mul_f32_e32 v202, v47, v202                              // 00000002770C: 0B95952F
	v_mul_f32_e32 v203, v47, v203                              // 000000027710: 0B97972F
	v_mul_f32_e32 v204, v47, v204                              // 000000027714: 0B99992F
	v_mul_f32_e32 v205, v47, v205                              // 000000027718: 0B9B9B2F
	v_mul_f32_e32 v206, v47, v206                              // 00000002771C: 0B9D9D2F
	v_mul_f32_e32 v207, v47, v207                              // 000000027720: 0B9F9F2F
	s_waitcnt lgkmcnt(0)                                       // 000000027724: BF8CC07F
	v_max3_f32 v48, v64, v65, v48                              // 000000027728: D1D30030 04C28340
	v_max3_f32 v48, v66, v67, v48                              // 000000027730: D1D30030 04C28742
	v_max3_f32 v48, v68, v69, v48                              // 000000027738: D1D30030 04C28B44
	v_max3_f32 v48, v70, v71, v48                              // 000000027740: D1D30030 04C28F46
	v_max3_f32 v48, v72, v73, v48                              // 000000027748: D1D30030 04C29348
	v_max3_f32 v48, v74, v75, v48                              // 000000027750: D1D30030 04C2974A
	v_max3_f32 v48, v76, v77, v48                              // 000000027758: D1D30030 04C29B4C
	v_max3_f32 v48, v78, v79, v48                              // 000000027760: D1D30030 04C29F4E
	v_mov_b32_e32 v64, 0xff800000                              // 000000027768: 7E8002FF FF800000
	v_cmp_eq_u32_e64 s[40:41], v64, v14                        // 000000027770: D0CA0028 00021D40
	s_nop 1                                                    // 000000027778: BF800001
	v_max_f32_e32 v15, v48, v14                                // 00000002777C: 161E1D30
	v_mul_f32_e32 v53, s64, v15                                // 000000027780: 0A6A1E40
	v_fma_f32 v160, v160, s64, -v53                            // 000000027784: D1CB00A0 84D481A0
	v_fma_f32 v161, v161, s64, -v53                            // 00000002778C: D1CB00A1 84D481A1
	v_fma_f32 v162, v162, s64, -v53                            // 000000027794: D1CB00A2 84D481A2
	v_fma_f32 v163, v163, s64, -v53                            // 00000002779C: D1CB00A3 84D481A3
	v_fma_f32 v164, v164, s64, -v53                            // 0000000277A4: D1CB00A4 84D481A4
	v_fma_f32 v165, v165, s64, -v53                            // 0000000277AC: D1CB00A5 84D481A5
	v_fma_f32 v166, v166, s64, -v53                            // 0000000277B4: D1CB00A6 84D481A6
	v_fma_f32 v167, v167, s64, -v53                            // 0000000277BC: D1CB00A7 84D481A7
	v_fma_f32 v168, v168, s64, -v53                            // 0000000277C4: D1CB00A8 84D481A8
	v_fma_f32 v169, v169, s64, -v53                            // 0000000277CC: D1CB00A9 84D481A9
	v_fma_f32 v170, v170, s64, -v53                            // 0000000277D4: D1CB00AA 84D481AA
	v_fma_f32 v171, v171, s64, -v53                            // 0000000277DC: D1CB00AB 84D481AB
	v_fma_f32 v172, v172, s64, -v53                            // 0000000277E4: D1CB00AC 84D481AC
	v_fma_f32 v173, v173, s64, -v53                            // 0000000277EC: D1CB00AD 84D481AD
	v_fma_f32 v174, v174, s64, -v53                            // 0000000277F4: D1CB00AE 84D481AE
	v_fma_f32 v175, v175, s64, -v53                            // 0000000277FC: D1CB00AF 84D481AF
	v_exp_f32_e32 v160, v160                                   // 000000027804: 7F4041A0
	v_exp_f32_e32 v161, v161                                   // 000000027808: 7F4241A1
	v_exp_f32_e32 v162, v162                                   // 00000002780C: 7F4441A2
	v_exp_f32_e32 v163, v163                                   // 000000027810: 7F4641A3
	v_exp_f32_e32 v164, v164                                   // 000000027814: 7F4841A4
	v_exp_f32_e32 v165, v165                                   // 000000027818: 7F4A41A5
	v_exp_f32_e32 v166, v166                                   // 00000002781C: 7F4C41A6
	v_exp_f32_e32 v167, v167                                   // 000000027820: 7F4E41A7
	v_exp_f32_e32 v168, v168                                   // 000000027824: 7F5041A8
	v_exp_f32_e32 v169, v169                                   // 000000027828: 7F5241A9
	v_exp_f32_e32 v170, v170                                   // 00000002782C: 7F5441AA
	v_exp_f32_e32 v171, v171                                   // 000000027830: 7F5641AB
	v_exp_f32_e32 v172, v172                                   // 000000027834: 7F5841AC
	v_exp_f32_e32 v173, v173                                   // 000000027838: 7F5A41AD
	v_exp_f32_e32 v174, v174                                   // 00000002783C: 7F5C41AE
	v_exp_f32_e32 v175, v175                                   // 000000027840: 7F5E41AF
	v_mul_f32_dpp v240, v252, v160 quad_perm:[0,0,0,0] row_mask:0xf bank_mask:0xf// 000000027844: 0BE140FA FF0000FC
	v_mul_f32_dpp v241, v252, v161 quad_perm:[1,1,1,1] row_mask:0xf bank_mask:0xf// 00000002784C: 0BE342FA FF0055FC
	v_mul_f32_dpp v242, v252, v162 quad_perm:[2,2,2,2] row_mask:0xf bank_mask:0xf// 000000027854: 0BE544FA FF00AAFC
	v_mul_f32_dpp v243, v252, v163 quad_perm:[3,3,3,3] row_mask:0xf bank_mask:0xf// 00000002785C: 0BE746FA FF00FFFC
	v_mul_f32_dpp v244, v253, v164 quad_perm:[0,0,0,0] row_mask:0xf bank_mask:0xf// 000000027864: 0BE948FA FF0000FD
	v_mul_f32_dpp v245, v253, v165 quad_perm:[1,1,1,1] row_mask:0xf bank_mask:0xf// 00000002786C: 0BEB4AFA FF0055FD
	v_mul_f32_dpp v246, v253, v166 quad_perm:[2,2,2,2] row_mask:0xf bank_mask:0xf// 000000027874: 0BED4CFA FF00AAFD
	v_mul_f32_dpp v247, v253, v167 quad_perm:[3,3,3,3] row_mask:0xf bank_mask:0xf// 00000002787C: 0BEF4EFA FF00FFFD
	v_mul_f32_dpp v248, v254, v168 quad_perm:[0,0,0,0] row_mask:0xf bank_mask:0xf// 000000027884: 0BF150FA FF0000FE
	v_mul_f32_dpp v249, v254, v169 quad_perm:[1,1,1,1] row_mask:0xf bank_mask:0xf// 00000002788C: 0BF352FA FF0055FE
	v_mul_f32_dpp v250, v254, v170 quad_perm:[2,2,2,2] row_mask:0xf bank_mask:0xf// 000000027894: 0BF554FA FF00AAFE
	v_mul_f32_dpp v251, v254, v171 quad_perm:[3,3,3,3] row_mask:0xf bank_mask:0xf// 00000002789C: 0BF756FA FF00FFFE
	v_mul_f32_dpp v252, v255, v172 quad_perm:[0,0,0,0] row_mask:0xf bank_mask:0xf// 0000000278A4: 0BF958FA FF0000FF
	v_mul_f32_dpp v253, v255, v173 quad_perm:[1,1,1,1] row_mask:0xf bank_mask:0xf// 0000000278AC: 0BFB5AFA FF0055FF
	v_mul_f32_dpp v254, v255, v174 quad_perm:[2,2,2,2] row_mask:0xf bank_mask:0xf// 0000000278B4: 0BFD5CFA FF00AAFF
	v_mul_f32_dpp v255, v255, v175 quad_perm:[3,3,3,3] row_mask:0xf bank_mask:0xf// 0000000278BC: 0BFF5EFA FF00FFFF
	v_mov_b32_e32 v48, 0x358637bd                              // 0000000278C4: 7E6002FF 358637BD
	v_max3_f32 v48, |v240|, |v241|, v48                        // 0000000278CC: D1D30330 04C3E3F0
	v_max3_f32 v48, |v242|, |v243|, v48                        // 0000000278D4: D1D30330 04C3E7F2
	v_max3_f32 v48, |v244|, |v245|, v48                        // 0000000278DC: D1D30330 04C3EBF4
	v_max3_f32 v48, |v246|, |v247|, v48                        // 0000000278E4: D1D30330 04C3EFF6
	v_max3_f32 v48, |v248|, |v249|, v48                        // 0000000278EC: D1D30330 04C3F3F8
	v_max3_f32 v48, |v250|, |v251|, v48                        // 0000000278F4: D1D30330 04C3F7FA
	v_max3_f32 v48, |v252|, |v253|, v48                        // 0000000278FC: D1D30330 04C3FBFC
	v_max3_f32 v48, |v254|, |v255|, v48                        // 000000027904: D1D30330 04C3FFFE
	ds_write_b32 v8, v48 offset:20992                          // 00000002790C: D81A5200 00003008
	v_sub_f32_e32 v52, v14, v15                                // 000000027914: 04681F0E
	v_cndmask_b32_e64 v52, v52, 0, s[40:41]                    // 000000027918: D1000034 00A10134
	v_mov_b32_e32 v14, v15                                     // 000000027920: 7E1C030F
	v_mul_f32_e32 v52, s64, v52                                // 000000027924: 0A686840
	v_exp_f32_e32 v52, v52                                     // 000000027928: 7E684134
	s_waitcnt lgkmcnt(0)                                       // 00000002792C: BF8CC07F
	s_barrier                                                  // 000000027930: BF8A0000
	ds_read_b32 v64, v7 offset:20992                           // 000000027934: D86C5200 40000007
	ds_read_b32 v65, v7 offset:21056                           // 00000002793C: D86C5240 41000007
	ds_read_b32 v66, v7 offset:21120                           // 000000027944: D86C5280 42000007
	ds_read_b32 v67, v7 offset:21184                           // 00000002794C: D86C52C0 43000007
	ds_read_b32 v68, v7 offset:21248                           // 000000027954: D86C5300 44000007
	ds_read_b32 v69, v7 offset:21312                           // 00000002795C: D86C5340 45000007
	ds_read_b32 v70, v7 offset:21376                           // 000000027964: D86C5380 46000007
	ds_read_b32 v71, v7 offset:21440                           // 00000002796C: D86C53C0 47000007
	ds_read_b32 v72, v7 offset:21504                           // 000000027974: D86C5400 48000007
	ds_read_b32 v73, v7 offset:21568                           // 00000002797C: D86C5440 49000007
	ds_read_b32 v74, v7 offset:21632                           // 000000027984: D86C5480 4A000007
	ds_read_b32 v75, v7 offset:21696                           // 00000002798C: D86C54C0 4B000007
	ds_read_b32 v76, v7 offset:21760                           // 000000027994: D86C5500 4C000007
	ds_read_b32 v77, v7 offset:21824                           // 00000002799C: D86C5540 4D000007
	ds_read_b32 v78, v7 offset:21888                           // 0000000279A4: D86C5580 4E000007
	ds_read_b32 v79, v7 offset:21952                           // 0000000279AC: D86C55C0 4F000007
	v_mul_f32_e32 v41, v52, v41                                // 0000000279B4: 0A525334
	v_mov_b32_e32 v15, v160                                    // 0000000279B8: 7E1E03A0
	v_add_f32_e32 v15, v161, v15                               // 0000000279BC: 021E1FA1
	v_add_f32_e32 v15, v162, v15                               // 0000000279C0: 021E1FA2
	v_add_f32_e32 v15, v163, v15                               // 0000000279C4: 021E1FA3
	v_add_f32_e32 v15, v164, v15                               // 0000000279C8: 021E1FA4
	v_add_f32_e32 v15, v165, v15                               // 0000000279CC: 021E1FA5
	v_add_f32_e32 v15, v166, v15                               // 0000000279D0: 021E1FA6
	v_add_f32_e32 v15, v167, v15                               // 0000000279D4: 021E1FA7
	v_add_f32_e32 v15, v168, v15                               // 0000000279D8: 021E1FA8
	v_add_f32_e32 v15, v169, v15                               // 0000000279DC: 021E1FA9
	v_add_f32_e32 v15, v170, v15                               // 0000000279E0: 021E1FAA
	v_add_f32_e32 v15, v171, v15                               // 0000000279E4: 021E1FAB
	v_add_f32_e32 v15, v172, v15                               // 0000000279E8: 021E1FAC
	v_add_f32_e32 v15, v173, v15                               // 0000000279EC: 021E1FAD
	v_add_f32_e32 v15, v174, v15                               // 0000000279F0: 021E1FAE
	v_add_f32_e32 v15, v175, v15                               // 0000000279F4: 021E1FAF
	v_add_f32_e32 v41, v15, v41                                // 0000000279F8: 0252530F
	s_waitcnt lgkmcnt(0)                                       // 0000000279FC: BF8CC07F
	v_max3_f32 v48, |v64|, |v65|, v48                          // 000000027A00: D1D30330 04C28340
	v_max3_f32 v48, |v66|, |v67|, v48                          // 000000027A08: D1D30330 04C28742
	v_max3_f32 v48, |v68|, |v69|, v48                          // 000000027A10: D1D30330 04C28B44
	v_max3_f32 v48, |v70|, |v71|, v48                          // 000000027A18: D1D30330 04C28F46
	v_max3_f32 v48, |v72|, |v73|, v48                          // 000000027A20: D1D30330 04C29348
	v_max3_f32 v48, |v74|, |v75|, v48                          // 000000027A28: D1D30330 04C2974A
	v_max3_f32 v48, |v76|, |v77|, v48                          // 000000027A30: D1D30330 04C29B4C
	v_max3_f32 v48, |v78|, |v79|, v48                          // 000000027A38: D1D30330 04C29F4E
	s_nop 2                                                    // 000000027A40: BF800002
	v_rcp_f32_e32 v48, v48                                     // 000000027A44: 7E604530
	s_nop 1                                                    // 000000027A48: BF800001
	v_mul_f32_e32 v48, 0x42fe0000, v48                         // 000000027A4C: 0A6060FF 42FE0000
	v_mul_f32_e32 v160, v48, v240                              // 000000027A54: 0B41E130
	v_mul_f32_e32 v161, v48, v241                              // 000000027A58: 0B43E330
	v_mul_f32_e32 v162, v48, v242                              // 000000027A5C: 0B45E530
	v_mul_f32_e32 v163, v48, v243                              // 000000027A60: 0B47E730
	v_mul_f32_e32 v164, v48, v244                              // 000000027A64: 0B49E930
	v_mul_f32_e32 v165, v48, v245                              // 000000027A68: 0B4BEB30
	v_mul_f32_e32 v166, v48, v246                              // 000000027A6C: 0B4DED30
	v_mul_f32_e32 v167, v48, v247                              // 000000027A70: 0B4FEF30
	v_mul_f32_e32 v168, v48, v248                              // 000000027A74: 0B51F130
	v_mul_f32_e32 v169, v48, v249                              // 000000027A78: 0B53F330
	v_mul_f32_e32 v170, v48, v250                              // 000000027A7C: 0B55F530
	v_mul_f32_e32 v171, v48, v251                              // 000000027A80: 0B57F730
	v_mul_f32_e32 v172, v48, v252                              // 000000027A84: 0B59F930
	v_mul_f32_e32 v173, v48, v253                              // 000000027A88: 0B5BFB30
	v_mul_f32_e32 v174, v48, v254                              // 000000027A8C: 0B5DFD30
	v_mul_f32_e32 v175, v48, v255                              // 000000027A90: 0B5FFF30
	v_cvt_i32_f32_e32 v160, v160                               // 000000027A94: 7F4011A0
	v_cvt_i32_f32_e32 v161, v161                               // 000000027A98: 7F4211A1
	v_cvt_i32_f32_e32 v162, v162                               // 000000027A9C: 7F4411A2
	v_cvt_i32_f32_e32 v163, v163                               // 000000027AA0: 7F4611A3
	v_cvt_i32_f32_e32 v164, v164                               // 000000027AA4: 7F4811A4
	v_cvt_i32_f32_e32 v165, v165                               // 000000027AA8: 7F4A11A5
	v_cvt_i32_f32_e32 v166, v166                               // 000000027AAC: 7F4C11A6
	v_cvt_i32_f32_e32 v167, v167                               // 000000027AB0: 7F4E11A7
	v_cvt_i32_f32_e32 v168, v168                               // 000000027AB4: 7F5011A8
	v_cvt_i32_f32_e32 v169, v169                               // 000000027AB8: 7F5211A9
	v_cvt_i32_f32_e32 v170, v170                               // 000000027ABC: 7F5411AA
	v_cvt_i32_f32_e32 v171, v171                               // 000000027AC0: 7F5611AB
	v_cvt_i32_f32_e32 v172, v172                               // 000000027AC4: 7F5811AC
	v_cvt_i32_f32_e32 v173, v173                               // 000000027AC8: 7F5A11AD
	v_cvt_i32_f32_e32 v174, v174                               // 000000027ACC: 7F5C11AE
	v_cvt_i32_f32_e32 v175, v175                               // 000000027AD0: 7F5E11AF
	v_perm_b32 v160, v161, v160, s53                           // 000000027AD4: D1ED00A0 00D741A1
	v_perm_b32 v160, v162, v160, s54                           // 000000027ADC: D1ED00A0 00DB41A2
	v_perm_b32 v160, v163, v160, s55                           // 000000027AE4: D1ED00A0 00DF41A3
	v_perm_b32 v161, v165, v164, s53                           // 000000027AEC: D1ED00A1 00D749A5
	v_perm_b32 v161, v166, v161, s54                           // 000000027AF4: D1ED00A1 00DB43A6
	v_perm_b32 v161, v167, v161, s55                           // 000000027AFC: D1ED00A1 00DF43A7
	v_perm_b32 v162, v169, v168, s53                           // 000000027B04: D1ED00A2 00D751A9
	v_perm_b32 v162, v170, v162, s54                           // 000000027B0C: D1ED00A2 00DB45AA
	v_perm_b32 v162, v171, v162, s55                           // 000000027B14: D1ED00A2 00DF45AB
	v_perm_b32 v163, v173, v172, s53                           // 000000027B1C: D1ED00A3 00D759AD
	v_perm_b32 v163, v174, v163, s54                           // 000000027B24: D1ED00A3 00DB47AE
	v_perm_b32 v163, v175, v163, s55                           // 000000027B2C: D1ED00A3 00DF47AF
	ds_write_b32 v10, v160 offset:37376                        // 000000027B34: D81A9200 0000A00A
	ds_write_b32 v10, v161 offset:38400                        // 000000027B3C: D81A9600 0000A10A
	ds_write_b32 v10, v162 offset:39424                        // 000000027B44: D81A9A00 0000A20A
	ds_write_b32 v10, v163 offset:40448                        // 000000027B4C: D81A9E00 0000A30A
	v_add_f32_e32 v232, v232, v200                             // 000000027B54: 03D191E8
	v_add_f32_e32 v233, v233, v201                             // 000000027B58: 03D393E9
	v_add_f32_e32 v234, v234, v202                             // 000000027B5C: 03D595EA
	v_add_f32_e32 v235, v235, v203                             // 000000027B60: 03D797EB
	v_add_f32_e32 v236, v236, v204                             // 000000027B64: 03D999EC
	v_add_f32_e32 v237, v237, v205                             // 000000027B68: 03DB9BED
	v_add_f32_e32 v238, v238, v206                             // 000000027B6C: 03DD9DEE
	v_add_f32_e32 v239, v239, v207                             // 000000027B70: 03DF9FEF
	v_rcp_f32_e32 v47, v48                                     // 000000027B74: 7E5E4530
	s_waitcnt lgkmcnt(0)                                       // 000000027B78: BF8CC07F
	s_barrier                                                  // 000000027B7C: BF8A0000
	ds_read_b64 v[160:161], v9 offset:37376                    // 000000027B80: D8EC9200 A0000009
	ds_read_b64 v[162:163], v9 offset:37504                    // 000000027B88: D8EC9280 A2000009
	ds_read_b64 v[164:165], v9 offset:38400                    // 000000027B90: D8EC9600 A4000009
	ds_read_b64 v[166:167], v9 offset:38528                    // 000000027B98: D8EC9680 A6000009
	ds_read_b64 v[168:169], v9 offset:39424                    // 000000027BA0: D8EC9A00 A8000009
	ds_read_b64 v[170:171], v9 offset:39552                    // 000000027BA8: D8EC9A80 AA000009
	ds_read_b64 v[172:173], v9 offset:40448                    // 000000027BB0: D8EC9E00 AC000009
	ds_read_b64 v[174:175], v9 offset:40576                    // 000000027BB8: D8EC9E80 AE000009
	s_waitcnt vmcnt(15)                                        // 000000027BC0: BF8C0F7F
	v_mfma_i32_16x16x32_i8 v[176:179], a[64:65], v[112:113], 0 // 000000027BC4: D3D700B0 0A02E140
	buffer_load_dwordx4 a[112:115], v34, s[20:23], 0 offen offset:1024// 000000027BCC: E05C1400 80857022
	v_mfma_i32_16x16x32_i8 v[176:179], a[66:67], v[114:115], v[176:179]// 000000027BD4: D3D700B0 0EC2E542
	v_mfma_i32_16x16x32_i8 v[176:179], a[68:69], v[116:117], v[176:179]// 000000027BDC: D3D700B0 0EC2E944
	v_mfma_i32_16x16x32_i8 v[176:179], a[70:71], v[118:119], v[176:179]// 000000027BE4: D3D700B0 0EC2ED46
	v_mfma_i32_16x16x32_i8 v[176:179], a[72:73], v[120:121], v[176:179]// 000000027BEC: D3D700B0 0EC2F148
	buffer_load_dwordx4 a[116:119], v35, s[20:23], 0 offen offset:1024// 000000027BF4: E05C1400 80857423
	v_mfma_i32_16x16x32_i8 v[176:179], a[74:75], v[122:123], v[176:179]// 000000027BFC: D3D700B0 0EC2F54A
	v_mfma_i32_16x16x32_i8 v[176:179], a[76:77], v[124:125], v[176:179]// 000000027C04: D3D700B0 0EC2F94C
	v_mfma_i32_16x16x32_i8 v[176:179], a[78:79], v[126:127], v[176:179]// 000000027C0C: D3D700B0 0EC2FD4E
	v_mfma_i32_16x16x32_i8 v[180:183], a[80:81], v[112:113], 0 // 000000027C14: D3D700B4 0A02E150
	buffer_load_dwordx4 a[120:123], v36, s[20:23], 0 offen offset:1024// 000000027C1C: E05C1400 80857824
	v_mfma_i32_16x16x32_i8 v[180:183], a[82:83], v[114:115], v[180:183]// 000000027C24: D3D700B4 0ED2E552
	v_mfma_i32_16x16x32_i8 v[180:183], a[84:85], v[116:117], v[180:183]// 000000027C2C: D3D700B4 0ED2E954
	v_mfma_i32_16x16x32_i8 v[180:183], a[86:87], v[118:119], v[180:183]// 000000027C34: D3D700B4 0ED2ED56
	v_mfma_i32_16x16x32_i8 v[180:183], a[88:89], v[120:121], v[180:183]// 000000027C3C: D3D700B4 0ED2F158
	buffer_load_dwordx4 a[124:127], v37, s[20:23], 0 offen offset:1024// 000000027C44: E05C1400 80857C25
	v_mfma_i32_16x16x32_i8 v[180:183], a[90:91], v[122:123], v[180:183]// 000000027C4C: D3D700B4 0ED2F55A
	v_mfma_i32_16x16x32_i8 v[180:183], a[92:93], v[124:125], v[180:183]// 000000027C54: D3D700B4 0ED2F95C
	s_lshr_b32 s57, s70, 4                                     // 000000027C5C: 8F398446
	s_add_u32 s57, 48, s57                                     // 000000027C60: 803939B0
	v_mfma_i32_16x16x32_i8 v[180:183], a[94:95], v[126:127], v[180:183]// 000000027C64: D3D700B4 0ED2FD5E
	s_cmp_ge_u32 s57, s73                                      // 000000027C6C: BF094939
	s_cselect_b32 s56, 0, s56                                  // 000000027C70: 85383880
	v_mfma_i32_16x16x32_i8 v[184:187], a[64:65], v[128:129], 0 // 000000027C74: D3D700B8 0A030140
	v_mfma_i32_16x16x32_i8 v[184:187], a[66:67], v[130:131], v[184:187]// 000000027C7C: D3D700B8 0EE30542
	v_mfma_i32_16x16x32_i8 v[184:187], a[68:69], v[132:133], v[184:187]// 000000027C84: D3D700B8 0EE30944
	v_mfma_i32_16x16x32_i8 v[184:187], a[70:71], v[134:135], v[184:187]// 000000027C8C: D3D700B8 0EE30D46
	v_mfma_i32_16x16x32_i8 v[184:187], a[72:73], v[136:137], v[184:187]// 000000027C94: D3D700B8 0EE31148
	v_mfma_i32_16x16x32_i8 v[184:187], a[74:75], v[138:139], v[184:187]// 000000027C9C: D3D700B8 0EE3154A
	v_mfma_i32_16x16x32_i8 v[184:187], a[76:77], v[140:141], v[184:187]// 000000027CA4: D3D700B8 0EE3194C
	v_mfma_i32_16x16x32_i8 v[184:187], a[78:79], v[142:143], v[184:187]// 000000027CAC: D3D700B8 0EE31D4E
	v_mfma_i32_16x16x32_i8 v[188:191], a[80:81], v[128:129], 0 // 000000027CB4: D3D700BC 0A030150
	v_mfma_i32_16x16x32_i8 v[188:191], a[82:83], v[130:131], v[188:191]// 000000027CBC: D3D700BC 0EF30552
	v_mfma_i32_16x16x32_i8 v[188:191], a[84:85], v[132:133], v[188:191]// 000000027CC4: D3D700BC 0EF30954
	v_mfma_i32_16x16x32_i8 v[188:191], a[86:87], v[134:135], v[188:191]// 000000027CCC: D3D700BC 0EF30D56
	v_mfma_i32_16x16x32_i8 v[188:191], a[88:89], v[136:137], v[188:191]// 000000027CD4: D3D700BC 0EF31158
	v_mfma_i32_16x16x32_i8 v[188:191], a[90:91], v[138:139], v[188:191]// 000000027CDC: D3D700BC 0EF3155A
	v_mfma_i32_16x16x32_i8 v[188:191], a[92:93], v[140:141], v[188:191]// 000000027CE4: D3D700BC 0EF3195C
	v_mfma_i32_16x16x32_i8 v[188:191], a[94:95], v[142:143], v[188:191]// 000000027CEC: D3D700BC 0EF31D5E
	v_mfma_i32_16x16x32_i8 v[192:195], a[64:65], v[144:145], 0 // 000000027CF4: D3D700C0 0A032140
	v_mfma_i32_16x16x32_i8 v[192:195], a[66:67], v[146:147], v[192:195]// 000000027CFC: D3D700C0 0F032542
	v_mfma_i32_16x16x32_i8 v[192:195], a[68:69], v[148:149], v[192:195]// 000000027D04: D3D700C0 0F032944
	v_mfma_i32_16x16x32_i8 v[192:195], a[70:71], v[150:151], v[192:195]// 000000027D0C: D3D700C0 0F032D46
	v_mfma_i32_16x16x32_i8 v[192:195], a[72:73], v[152:153], v[192:195]// 000000027D14: D3D700C0 0F033148
	v_mfma_i32_16x16x32_i8 v[192:195], a[74:75], v[154:155], v[192:195]// 000000027D1C: D3D700C0 0F03354A
	v_mfma_i32_16x16x32_i8 v[192:195], a[76:77], v[156:157], v[192:195]// 000000027D24: D3D700C0 0F03394C
	v_mfma_i32_16x16x32_i8 v[192:195], a[78:79], v[158:159], v[192:195]// 000000027D2C: D3D700C0 0F033D4E
	v_mfma_i32_16x16x32_i8 v[196:199], a[80:81], v[144:145], 0 // 000000027D34: D3D700C4 0A032150
	v_mfma_i32_16x16x32_i8 v[196:199], a[82:83], v[146:147], v[196:199]// 000000027D3C: D3D700C4 0F132552
	v_mfma_i32_16x16x32_i8 v[196:199], a[84:85], v[148:149], v[196:199]// 000000027D44: D3D700C4 0F132954
	v_mfma_i32_16x16x32_i8 v[196:199], a[86:87], v[150:151], v[196:199]// 000000027D4C: D3D700C4 0F132D56
	v_mfma_i32_16x16x32_i8 v[196:199], a[88:89], v[152:153], v[196:199]// 000000027D54: D3D700C4 0F133158
	v_mfma_i32_16x16x32_i8 v[196:199], a[90:91], v[154:155], v[196:199]// 000000027D5C: D3D700C4 0F13355A
	v_mfma_i32_16x16x32_i8 v[196:199], a[92:93], v[156:157], v[196:199]// 000000027D64: D3D700C4 0F13395C
	v_mfma_i32_16x16x32_i8 v[196:199], a[94:95], v[158:159], v[196:199]// 000000027D6C: D3D700C4 0F133D5E
	v_mfma_i32_16x16x32_i8 v[200:203], a[64:65], v[160:161], 0 // 000000027D74: D3D700C8 0A034140
	v_mfma_i32_16x16x32_i8 v[200:203], a[66:67], v[162:163], v[200:203]// 000000027D7C: D3D700C8 0F234542
	v_mfma_i32_16x16x32_i8 v[200:203], a[68:69], v[164:165], v[200:203]// 000000027D84: D3D700C8 0F234944
	v_mfma_i32_16x16x32_i8 v[200:203], a[70:71], v[166:167], v[200:203]// 000000027D8C: D3D700C8 0F234D46
	v_mfma_i32_16x16x32_i8 v[200:203], a[72:73], v[168:169], v[200:203]// 000000027D94: D3D700C8 0F235148
	v_mfma_i32_16x16x32_i8 v[200:203], a[74:75], v[170:171], v[200:203]// 000000027D9C: D3D700C8 0F23554A
	v_mfma_i32_16x16x32_i8 v[200:203], a[76:77], v[172:173], v[200:203]// 000000027DA4: D3D700C8 0F23594C
	v_mfma_i32_16x16x32_i8 v[200:203], a[78:79], v[174:175], v[200:203]// 000000027DAC: D3D700C8 0F235D4E
	v_mfma_i32_16x16x32_i8 v[204:207], a[80:81], v[160:161], 0 // 000000027DB4: D3D700CC 0A034150
	v_mfma_i32_16x16x32_i8 v[204:207], a[82:83], v[162:163], v[204:207]// 000000027DBC: D3D700CC 0F334552
	v_mfma_i32_16x16x32_i8 v[204:207], a[84:85], v[164:165], v[204:207]// 000000027DC4: D3D700CC 0F334954
	v_mfma_i32_16x16x32_i8 v[204:207], a[86:87], v[166:167], v[204:207]// 000000027DCC: D3D700CC 0F334D56
	v_mfma_i32_16x16x32_i8 v[204:207], a[88:89], v[168:169], v[204:207]// 000000027DD4: D3D700CC 0F335158
	v_mfma_i32_16x16x32_i8 v[204:207], a[90:91], v[170:171], v[204:207]// 000000027DDC: D3D700CC 0F33555A
	v_mfma_i32_16x16x32_i8 v[204:207], a[92:93], v[172:173], v[204:207]// 000000027DE4: D3D700CC 0F33595C
	v_mfma_i32_16x16x32_i8 v[204:207], a[94:95], v[174:175], v[204:207]// 000000027DEC: D3D700CC 0F335D5E
	v_add_u32_e32 v1, s56, v1                                  // 000000027DF4: 68020238
	s_addk_i32 s70, 0x100                                      // 000000027DF8: B7460100
	s_cmp_lt_i32 s70, s71                                      // 000000027DFC: BF044746
	s_cbranch_scc0 label_8C43                                  // 000000027E00: BF84F542
	s_waitcnt vmcnt(8) lgkmcnt(0)                              // 000000027E04: BF8C0078
	v_mul_u32_u24_dpp v64, v16, v54 row_newbcast:0 row_mask:0xf bank_mask:0xf// 000000027E08: 10806CFA FF015010
	v_mul_u32_u24_dpp v65, v16, v54 row_newbcast:4 row_mask:0xf bank_mask:0xf// 000000027E10: 10826CFA FF015410
	v_mul_u32_u24_dpp v66, v16, v54 row_newbcast:8 row_mask:0xf bank_mask:0xf// 000000027E18: 10846CFA FF015810
	v_mul_u32_u24_dpp v67, v16, v54 row_newbcast:12 row_mask:0xf bank_mask:0xf// 000000027E20: 10866CFA FF015C10
	v_add_u32_e32 v22, v64, v5                                 // 000000027E28: 682C0B40
	v_add_u32_e32 v23, v65, v5                                 // 000000027E2C: 682E0B41
	v_add_u32_e32 v24, v66, v5                                 // 000000027E30: 68300B42
	v_add_u32_e32 v25, v67, v5                                 // 000000027E34: 68320B43
	v_mul_u32_u24_dpp v64, v16, v63 quad_perm:[0,0,0,0] row_mask:0xf bank_mask:0xf// 000000027E38: 10807EFA FF000010
	v_add_u32_e32 v2, v64, v59                                 // 000000027E40: 68047740
	v_mul_u32_u24_dpp v64, v16, v63 quad_perm:[0,0,0,0] row_mask:0xf bank_mask:0xf// 000000027E44: 10807EFA FF000010
	v_add_u32_e32 v55, v64, v60                                // 000000027E4C: 686E7940
	v_mfma_i32_16x16x32_i8 v[112:115], a[32:33], v[80:81], 0   // 000000027E50: D3D70070 0A02A120
	buffer_load_dwordx4 a[0:3], v22, s[16:19], 0 offen         // 000000027E58: E05C1000 80840016
	v_mfma_i32_16x16x32_i8 v[112:115], a[34:35], v[82:83], v[112:115]// 000000027E60: D3D70070 0DC2A522
	v_mfma_i32_16x16x32_i8 v[112:115], a[36:37], v[84:85], v[112:115]// 000000027E68: D3D70070 0DC2A924
	buffer_load_dword v17, v1, s[24:27], 0 offen               // 000000027E70: E0501000 80061101
	v_mfma_i32_16x16x32_i8 v[112:115], a[38:39], v[86:87], v[112:115]// 000000027E78: D3D70070 0DC2AD26
	v_mfma_i32_16x16x32_i8 v[116:119], a[40:41], v[80:81], 0   // 000000027E80: D3D70074 0A02A128
	buffer_load_dwordx4 a[4:7], v22, s[16:19], 0 offen offset:1024// 000000027E88: E05C1400 80840416
	v_mfma_i32_16x16x32_i8 v[116:119], a[42:43], v[82:83], v[116:119]// 000000027E90: D3D70074 0DD2A52A
	v_mfma_i32_16x16x32_i8 v[116:119], a[44:45], v[84:85], v[116:119]// 000000027E98: D3D70074 0DD2A92C
	v_mfma_i32_16x16x32_i8 v[116:119], a[46:47], v[86:87], v[116:119]// 000000027EA0: D3D70074 0DD2AD2E
	v_mfma_i32_16x16x32_i8 v[120:123], a[48:49], v[80:81], 0   // 000000027EA8: D3D70078 0A02A130
	buffer_load_dwordx4 a[8:11], v23, s[16:19], 0 offen        // 000000027EB0: E05C1000 80840817
	v_mfma_i32_16x16x32_i8 v[120:123], a[50:51], v[82:83], v[120:123]// 000000027EB8: D3D70078 0DE2A532
	v_mfma_i32_16x16x32_i8 v[120:123], a[52:53], v[84:85], v[120:123]// 000000027EC0: D3D70078 0DE2A934
	v_mfma_i32_16x16x32_i8 v[120:123], a[54:55], v[86:87], v[120:123]// 000000027EC8: D3D70078 0DE2AD36
	v_mfma_i32_16x16x32_i8 v[124:127], a[56:57], v[80:81], 0   // 000000027ED0: D3D7007C 0A02A138
	buffer_load_dwordx4 a[12:15], v23, s[16:19], 0 offen offset:1024// 000000027ED8: E05C1400 80840C17
	v_mfma_i32_16x16x32_i8 v[124:127], a[58:59], v[82:83], v[124:127]// 000000027EE0: D3D7007C 0DF2A53A
	v_mfma_i32_16x16x32_i8 v[124:127], a[60:61], v[84:85], v[124:127]// 000000027EE8: D3D7007C 0DF2A93C
	v_mfma_i32_16x16x32_i8 v[124:127], a[62:63], v[86:87], v[124:127]// 000000027EF0: D3D7007C 0DF2AD3E
	v_mfma_i32_16x16x32_i8 v[128:131], a[32:33], v[88:89], 0   // 000000027EF8: D3D70080 0A02B120
	v_mfma_i32_16x16x32_i8 v[128:131], a[34:35], v[90:91], v[128:131]// 000000027F00: D3D70080 0E02B522
	v_mfma_i32_16x16x32_i8 v[128:131], a[36:37], v[92:93], v[128:131]// 000000027F08: D3D70080 0E02B924
	v_mfma_i32_16x16x32_i8 v[128:131], a[38:39], v[94:95], v[128:131]// 000000027F10: D3D70080 0E02BD26
	v_mfma_i32_16x16x32_i8 v[132:135], a[40:41], v[88:89], 0   // 000000027F18: D3D70084 0A02B128
	v_mfma_i32_16x16x32_i8 v[132:135], a[42:43], v[90:91], v[132:135]// 000000027F20: D3D70084 0E12B52A
	v_mfma_i32_16x16x32_i8 v[132:135], a[44:45], v[92:93], v[132:135]// 000000027F28: D3D70084 0E12B92C
	v_mfma_i32_16x16x32_i8 v[132:135], a[46:47], v[94:95], v[132:135]// 000000027F30: D3D70084 0E12BD2E
	v_mfma_i32_16x16x32_i8 v[136:139], a[48:49], v[88:89], 0   // 000000027F38: D3D70088 0A02B130
	v_mfma_i32_16x16x32_i8 v[136:139], a[50:51], v[90:91], v[136:139]// 000000027F40: D3D70088 0E22B532
	v_mfma_i32_16x16x32_i8 v[136:139], a[52:53], v[92:93], v[136:139]// 000000027F48: D3D70088 0E22B934
	v_mfma_i32_16x16x32_i8 v[136:139], a[54:55], v[94:95], v[136:139]// 000000027F50: D3D70088 0E22BD36
	v_mfma_i32_16x16x32_i8 v[140:143], a[56:57], v[88:89], 0   // 000000027F58: D3D7008C 0A02B138
	v_mfma_i32_16x16x32_i8 v[140:143], a[58:59], v[90:91], v[140:143]// 000000027F60: D3D7008C 0E32B53A
	v_mfma_i32_16x16x32_i8 v[140:143], a[60:61], v[92:93], v[140:143]// 000000027F68: D3D7008C 0E32B93C
	v_mfma_i32_16x16x32_i8 v[140:143], a[62:63], v[94:95], v[140:143]// 000000027F70: D3D7008C 0E32BD3E
	v_mfma_i32_16x16x32_i8 v[144:147], a[32:33], v[96:97], 0   // 000000027F78: D3D70090 0A02C120
	v_mfma_i32_16x16x32_i8 v[144:147], a[34:35], v[98:99], v[144:147]// 000000027F80: D3D70090 0E42C522
	v_mfma_i32_16x16x32_i8 v[144:147], a[36:37], v[100:101], v[144:147]// 000000027F88: D3D70090 0E42C924
	v_mfma_i32_16x16x32_i8 v[144:147], a[38:39], v[102:103], v[144:147]// 000000027F90: D3D70090 0E42CD26
	v_mfma_i32_16x16x32_i8 v[148:151], a[40:41], v[96:97], 0   // 000000027F98: D3D70094 0A02C128
	v_mfma_i32_16x16x32_i8 v[148:151], a[42:43], v[98:99], v[148:151]// 000000027FA0: D3D70094 0E52C52A
	v_mfma_i32_16x16x32_i8 v[148:151], a[44:45], v[100:101], v[148:151]// 000000027FA8: D3D70094 0E52C92C
	v_mfma_i32_16x16x32_i8 v[148:151], a[46:47], v[102:103], v[148:151]// 000000027FB0: D3D70094 0E52CD2E
	v_mfma_i32_16x16x32_i8 v[152:155], a[48:49], v[96:97], 0   // 000000027FB8: D3D70098 0A02C130
	v_mfma_i32_16x16x32_i8 v[152:155], a[50:51], v[98:99], v[152:155]// 000000027FC0: D3D70098 0E62C532
	v_mfma_i32_16x16x32_i8 v[152:155], a[52:53], v[100:101], v[152:155]// 000000027FC8: D3D70098 0E62C934
	v_mfma_i32_16x16x32_i8 v[152:155], a[54:55], v[102:103], v[152:155]// 000000027FD0: D3D70098 0E62CD36
	v_mfma_i32_16x16x32_i8 v[156:159], a[56:57], v[96:97], 0   // 000000027FD8: D3D7009C 0A02C138
	v_mfma_i32_16x16x32_i8 v[156:159], a[58:59], v[98:99], v[156:159]// 000000027FE0: D3D7009C 0E72C53A
	v_mfma_i32_16x16x32_i8 v[156:159], a[60:61], v[100:101], v[156:159]// 000000027FE8: D3D7009C 0E72C93C
	v_mfma_i32_16x16x32_i8 v[156:159], a[62:63], v[102:103], v[156:159]// 000000027FF0: D3D7009C 0E72CD3E
	v_mfma_i32_16x16x32_i8 v[160:163], a[32:33], v[104:105], 0 // 000000027FF8: D3D700A0 0A02D120
	v_mfma_i32_16x16x32_i8 v[160:163], a[34:35], v[106:107], v[160:163]// 000000028000: D3D700A0 0E82D522
	v_mfma_i32_16x16x32_i8 v[160:163], a[36:37], v[108:109], v[160:163]// 000000028008: D3D700A0 0E82D924
	v_mfma_i32_16x16x32_i8 v[160:163], a[38:39], v[110:111], v[160:163]// 000000028010: D3D700A0 0E82DD26
	v_mfma_i32_16x16x32_i8 v[164:167], a[40:41], v[104:105], 0 // 000000028018: D3D700A4 0A02D128
	v_mfma_i32_16x16x32_i8 v[164:167], a[42:43], v[106:107], v[164:167]// 000000028020: D3D700A4 0E92D52A
	v_mfma_i32_16x16x32_i8 v[164:167], a[44:45], v[108:109], v[164:167]// 000000028028: D3D700A4 0E92D92C
	v_mfma_i32_16x16x32_i8 v[164:167], a[46:47], v[110:111], v[164:167]// 000000028030: D3D700A4 0E92DD2E
	v_mfma_i32_16x16x32_i8 v[168:171], a[48:49], v[104:105], 0 // 000000028038: D3D700A8 0A02D130
	v_mfma_i32_16x16x32_i8 v[168:171], a[50:51], v[106:107], v[168:171]// 000000028040: D3D700A8 0EA2D532
	v_mfma_i32_16x16x32_i8 v[168:171], a[52:53], v[108:109], v[168:171]// 000000028048: D3D700A8 0EA2D934
	v_mfma_i32_16x16x32_i8 v[168:171], a[54:55], v[110:111], v[168:171]// 000000028050: D3D700A8 0EA2DD36
	v_mfma_i32_16x16x32_i8 v[172:175], a[56:57], v[104:105], 0 // 000000028058: D3D700AC 0A02D138
	v_mfma_i32_16x16x32_i8 v[172:175], a[58:59], v[106:107], v[172:175]// 000000028060: D3D700AC 0EB2D53A
	v_mfma_i32_16x16x32_i8 v[172:175], a[60:61], v[108:109], v[172:175]// 000000028068: D3D700AC 0EB2D93C
	v_mfma_i32_16x16x32_i8 v[172:175], a[62:63], v[110:111], v[172:175]// 000000028070: D3D700AC 0EB2DD3E
	buffer_load_dword v42, v2, s[32:35], 0 offen               // 000000028078: E0501000 80082A02
	v_mov_b32_dpp v64, v43 row_shr:4 row_mask:0xf bank_mask:0xf// 000000028080: 7E8002FA FF01142B
	v_mov_b32_dpp v65, v43 row_shl:4 row_mask:0xf bank_mask:0xf// 000000028088: 7E8202FA FF01042B
	v_cndmask_b32_e64 v248, v43, v64, s[44:45]                 // 000000028090: D10000F8 00B2812B
	v_cndmask_b32_e64 v249, v65, v43, s[44:45]                 // 000000028098: D10000F9 00B25741
	v_mov_b32_dpp v64, v248 row_shr:8 row_mask:0xf bank_mask:0xf// 0000000280A0: 7E8002FA FF0118F8
	v_mov_b32_dpp v65, v248 row_shl:8 row_mask:0xf bank_mask:0xf// 0000000280A8: 7E8202FA FF0108F8
	v_mov_b32_dpp v66, v249 row_shr:8 row_mask:0xf bank_mask:0xf// 0000000280B0: 7E8402FA FF0118F9
	v_mov_b32_dpp v67, v249 row_shl:8 row_mask:0xf bank_mask:0xf// 0000000280B8: 7E8602FA FF0108F9
	v_mov_b32_e32 v68, v248                                    // 0000000280C0: 7E8803F8
	v_mov_b32_e32 v69, v249                                    // 0000000280C4: 7E8A03F9
	v_cndmask_b32_e64 v248, v68, v64, s[42:43]                 // 0000000280C8: D10000F8 00AA8144
	v_cndmask_b32_e64 v250, v68, v65, s[78:79]                 // 0000000280D0: D10000FA 013A8344
	v_cndmask_b32_e64 v249, v69, v66, s[42:43]                 // 0000000280D8: D10000F9 00AA8545
	v_cndmask_b32_e64 v251, v69, v67, s[78:79]                 // 0000000280E0: D10000FB 013A8745
	v_mov_b32_dpp v64, v58 row_shr:4 row_mask:0xf bank_mask:0xf// 0000000280E8: 7E8002FA FF01143A
	v_mov_b32_dpp v65, v58 row_shl:4 row_mask:0xf bank_mask:0xf// 0000000280F0: 7E8202FA FF01043A
	v_cndmask_b32_e64 v252, v58, v64, s[44:45]                 // 0000000280F8: D10000FC 00B2813A
	v_cndmask_b32_e64 v253, v65, v58, s[44:45]                 // 000000028100: D10000FD 00B27541
	v_mov_b32_dpp v64, v252 row_shr:8 row_mask:0xf bank_mask:0xf// 000000028108: 7E8002FA FF0118FC
	v_mov_b32_dpp v65, v252 row_shl:8 row_mask:0xf bank_mask:0xf// 000000028110: 7E8202FA FF0108FC
	v_mov_b32_dpp v66, v253 row_shr:8 row_mask:0xf bank_mask:0xf// 000000028118: 7E8402FA FF0118FD
	v_mov_b32_dpp v67, v253 row_shl:8 row_mask:0xf bank_mask:0xf// 000000028120: 7E8602FA FF0108FD
	v_mov_b32_e32 v68, v252                                    // 000000028128: 7E8803FC
	v_mov_b32_e32 v69, v253                                    // 00000002812C: 7E8A03FD
	v_cndmask_b32_e64 v252, v68, v64, s[42:43]                 // 000000028130: D10000FC 00AA8144
	v_cndmask_b32_e64 v254, v68, v65, s[78:79]                 // 000000028138: D10000FE 013A8344
	v_cndmask_b32_e64 v253, v69, v66, s[42:43]                 // 000000028140: D10000FD 00AA8545
	v_cndmask_b32_e64 v255, v69, v67, s[78:79]                 // 000000028148: D10000FF 013A8745
	buffer_load_dword v57, v55, s[36:39], 0 offen              // 000000028150: E0501000 80093937
	v_cvt_f32_i32_e32 v112, v112                               // 000000028158: 7EE00B70
	v_cvt_f32_i32_e32 v113, v113                               // 00000002815C: 7EE20B71
	v_cvt_f32_i32_e32 v114, v114                               // 000000028160: 7EE40B72
	v_cvt_f32_i32_e32 v115, v115                               // 000000028164: 7EE60B73
	v_cvt_f32_i32_e32 v116, v116                               // 000000028168: 7EE80B74
	v_cvt_f32_i32_e32 v117, v117                               // 00000002816C: 7EEA0B75
	v_cvt_f32_i32_e32 v118, v118                               // 000000028170: 7EEC0B76
	v_cvt_f32_i32_e32 v119, v119                               // 000000028174: 7EEE0B77
	v_cvt_f32_i32_e32 v120, v120                               // 000000028178: 7EF00B78
	v_cvt_f32_i32_e32 v121, v121                               // 00000002817C: 7EF20B79
	v_cvt_f32_i32_e32 v122, v122                               // 000000028180: 7EF40B7A
	v_cvt_f32_i32_e32 v123, v123                               // 000000028184: 7EF60B7B
	v_cvt_f32_i32_e32 v124, v124                               // 000000028188: 7EF80B7C
	v_cvt_f32_i32_e32 v125, v125                               // 00000002818C: 7EFA0B7D
	v_cvt_f32_i32_e32 v126, v126                               // 000000028190: 7EFC0B7E
	v_cvt_f32_i32_e32 v127, v127                               // 000000028194: 7EFE0B7F
	v_mul_f32_e32 v112, v18, v112                              // 000000028198: 0AE0E112
	v_mul_f32_e32 v113, v18, v113                              // 00000002819C: 0AE2E312
	v_mul_f32_e32 v114, v18, v114                              // 0000000281A0: 0AE4E512
	v_mul_f32_e32 v115, v18, v115                              // 0000000281A4: 0AE6E712
	v_mul_f32_e32 v116, v18, v116                              // 0000000281A8: 0AE8E912
	v_mul_f32_e32 v117, v18, v117                              // 0000000281AC: 0AEAEB12
	v_mul_f32_e32 v118, v18, v118                              // 0000000281B0: 0AECED12
	v_mul_f32_e32 v119, v18, v119                              // 0000000281B4: 0AEEEF12
	v_mul_f32_e32 v120, v18, v120                              // 0000000281B8: 0AF0F112
	v_mul_f32_e32 v121, v18, v121                              // 0000000281BC: 0AF2F312
	v_mul_f32_e32 v122, v18, v122                              // 0000000281C0: 0AF4F512
	v_mul_f32_e32 v123, v18, v123                              // 0000000281C4: 0AF6F712
	v_mul_f32_e32 v124, v18, v124                              // 0000000281C8: 0AF8F912
	v_mul_f32_e32 v125, v18, v125                              // 0000000281CC: 0AFAFB12
	v_mul_f32_e32 v126, v18, v126                              // 0000000281D0: 0AFCFD12
	v_mul_f32_e32 v127, v18, v127                              // 0000000281D4: 0AFEFF12
	buffer_load_dwordx4 a[16:19], v24, s[16:19], 0 offen       // 0000000281D8: E05C1000 80841018
	v_mul_f32_dpp v112, v248, v112 quad_perm:[0,0,0,0] row_mask:0xf bank_mask:0xf// 0000000281E0: 0AE0E0FA FF0000F8
	v_mul_f32_dpp v113, v248, v113 quad_perm:[1,1,1,1] row_mask:0xf bank_mask:0xf// 0000000281E8: 0AE2E2FA FF0055F8
	v_mul_f32_dpp v114, v248, v114 quad_perm:[2,2,2,2] row_mask:0xf bank_mask:0xf// 0000000281F0: 0AE4E4FA FF00AAF8
	v_mul_f32_dpp v115, v248, v115 quad_perm:[3,3,3,3] row_mask:0xf bank_mask:0xf// 0000000281F8: 0AE6E6FA FF00FFF8
	v_mul_f32_dpp v116, v249, v116 quad_perm:[0,0,0,0] row_mask:0xf bank_mask:0xf// 000000028200: 0AE8E8FA FF0000F9
	v_mul_f32_dpp v117, v249, v117 quad_perm:[1,1,1,1] row_mask:0xf bank_mask:0xf// 000000028208: 0AEAEAFA FF0055F9
	v_mul_f32_dpp v118, v249, v118 quad_perm:[2,2,2,2] row_mask:0xf bank_mask:0xf// 000000028210: 0AECECFA FF00AAF9
	v_mul_f32_dpp v119, v249, v119 quad_perm:[3,3,3,3] row_mask:0xf bank_mask:0xf// 000000028218: 0AEEEEFA FF00FFF9
	v_mul_f32_dpp v120, v250, v120 quad_perm:[0,0,0,0] row_mask:0xf bank_mask:0xf// 000000028220: 0AF0F0FA FF0000FA
	v_mul_f32_dpp v121, v250, v121 quad_perm:[1,1,1,1] row_mask:0xf bank_mask:0xf// 000000028228: 0AF2F2FA FF0055FA
	v_mul_f32_dpp v122, v250, v122 quad_perm:[2,2,2,2] row_mask:0xf bank_mask:0xf// 000000028230: 0AF4F4FA FF00AAFA
	v_mul_f32_dpp v123, v250, v123 quad_perm:[3,3,3,3] row_mask:0xf bank_mask:0xf// 000000028238: 0AF6F6FA FF00FFFA
	v_mul_f32_dpp v124, v251, v124 quad_perm:[0,0,0,0] row_mask:0xf bank_mask:0xf// 000000028240: 0AF8F8FA FF0000FB
	v_mul_f32_dpp v125, v251, v125 quad_perm:[1,1,1,1] row_mask:0xf bank_mask:0xf// 000000028248: 0AFAFAFA FF0055FB
	v_mul_f32_dpp v126, v251, v126 quad_perm:[2,2,2,2] row_mask:0xf bank_mask:0xf// 000000028250: 0AFCFCFA FF00AAFB
	v_mul_f32_dpp v127, v251, v127 quad_perm:[3,3,3,3] row_mask:0xf bank_mask:0xf// 000000028258: 0AFEFEFA FF00FFFB
	buffer_load_dwordx4 a[20:23], v24, s[16:19], 0 offen offset:1024// 000000028260: E05C1400 80841418
	s_cmp_le_i32 s90, s89                                      // 000000028268: BF05595A
	s_cbranch_scc1 label_988D                                  // 00000002826C: BF850071
	v_mov_b32_e32 v66, 0xff800000                              // 000000028270: 7E8402FF FF800000
	s_mov_b32 s60, s90                                         // 000000028278: BEBC005A
	s_add_u32 s61, s89, 0xff                                   // 00000002827C: 803DFF59 000000FF
	v_mov_b32_e32 v64, s61                                     // 000000028284: 7E80023D
	v_lshrrev_b32_e32 v240, 4, v0                              // 000000028288: 21E00084
	v_mul_i32_i24_e32 v240, 4, v240                            // 00000002828C: 0DE1E084
	v_add_u32_e32 v240, s60, v240                              // 000000028290: 69E1E03C
	s_mov_b32 s61, 0                                           // 000000028294: BEBD0080
	s_mul_i32 s60, 16, s7                                      // 000000028298: 923C0790
	v_sub_u32_e64 v240, v240, s61                              // 00000002829C: D13500F0 00007BF0
	v_add_u32_e32 v240, s60, v240                              // 0000000282A4: 69E1E03C
	v_add_u32_e32 v241, 1, v240                                // 0000000282A8: 69E3E081
	v_add_u32_e32 v242, 2, v240                                // 0000000282AC: 69E5E082
	v_add_u32_e32 v243, 3, v240                                // 0000000282B0: 69E7E083
	v_cmp_le_u32_e64 s[40:41], v240, v64                       // 0000000282B4: D0CB0028 000281F0
	v_add_u32_e32 v240, 64, v240                               // 0000000282BC: 69E1E0C0
	s_nop 0                                                    // 0000000282C0: BF800000
	v_cndmask_b32_e64 v112, v66, v112, s[40:41]                // 0000000282C4: D1000070 00A2E142
	v_cmp_le_u32_e64 s[40:41], v241, v64                       // 0000000282CC: D0CB0028 000281F1
	v_add_u32_e32 v241, 64, v241                               // 0000000282D4: 69E3E2C0
	s_nop 0                                                    // 0000000282D8: BF800000
	v_cndmask_b32_e64 v113, v66, v113, s[40:41]                // 0000000282DC: D1000071 00A2E342
	v_cmp_le_u32_e64 s[40:41], v242, v64                       // 0000000282E4: D0CB0028 000281F2
	v_add_u32_e32 v242, 64, v242                               // 0000000282EC: 69E5E4C0
	s_nop 0                                                    // 0000000282F0: BF800000
	v_cndmask_b32_e64 v114, v66, v114, s[40:41]                // 0000000282F4: D1000072 00A2E542
	v_cmp_le_u32_e64 s[40:41], v243, v64                       // 0000000282FC: D0CB0028 000281F3
	v_add_u32_e32 v243, 64, v243                               // 000000028304: 69E7E6C0
	s_nop 0                                                    // 000000028308: BF800000
	v_cndmask_b32_e64 v115, v66, v115, s[40:41]                // 00000002830C: D1000073 00A2E742
	v_cmp_le_u32_e64 s[40:41], v240, v64                       // 000000028314: D0CB0028 000281F0
	v_add_u32_e32 v240, 64, v240                               // 00000002831C: 69E1E0C0
	s_nop 0                                                    // 000000028320: BF800000
	v_cndmask_b32_e64 v116, v66, v116, s[40:41]                // 000000028324: D1000074 00A2E942
	v_cmp_le_u32_e64 s[40:41], v241, v64                       // 00000002832C: D0CB0028 000281F1
	v_add_u32_e32 v241, 64, v241                               // 000000028334: 69E3E2C0
	s_nop 0                                                    // 000000028338: BF800000
	v_cndmask_b32_e64 v117, v66, v117, s[40:41]                // 00000002833C: D1000075 00A2EB42
	v_cmp_le_u32_e64 s[40:41], v242, v64                       // 000000028344: D0CB0028 000281F2
	v_add_u32_e32 v242, 64, v242                               // 00000002834C: 69E5E4C0
	s_nop 0                                                    // 000000028350: BF800000
	v_cndmask_b32_e64 v118, v66, v118, s[40:41]                // 000000028354: D1000076 00A2ED42
	v_cmp_le_u32_e64 s[40:41], v243, v64                       // 00000002835C: D0CB0028 000281F3
	v_add_u32_e32 v243, 64, v243                               // 000000028364: 69E7E6C0
	s_nop 0                                                    // 000000028368: BF800000
	v_cndmask_b32_e64 v119, v66, v119, s[40:41]                // 00000002836C: D1000077 00A2EF42
	v_cmp_le_u32_e64 s[40:41], v240, v64                       // 000000028374: D0CB0028 000281F0
	v_add_u32_e32 v240, 64, v240                               // 00000002837C: 69E1E0C0
	s_nop 0                                                    // 000000028380: BF800000
	v_cndmask_b32_e64 v120, v66, v120, s[40:41]                // 000000028384: D1000078 00A2F142
	v_cmp_le_u32_e64 s[40:41], v241, v64                       // 00000002838C: D0CB0028 000281F1
	v_add_u32_e32 v241, 64, v241                               // 000000028394: 69E3E2C0
	s_nop 0                                                    // 000000028398: BF800000
	v_cndmask_b32_e64 v121, v66, v121, s[40:41]                // 00000002839C: D1000079 00A2F342
	v_cmp_le_u32_e64 s[40:41], v242, v64                       // 0000000283A4: D0CB0028 000281F2
	v_add_u32_e32 v242, 64, v242                               // 0000000283AC: 69E5E4C0
	s_nop 0                                                    // 0000000283B0: BF800000
	v_cndmask_b32_e64 v122, v66, v122, s[40:41]                // 0000000283B4: D100007A 00A2F542
	v_cmp_le_u32_e64 s[40:41], v243, v64                       // 0000000283BC: D0CB0028 000281F3
	v_add_u32_e32 v243, 64, v243                               // 0000000283C4: 69E7E6C0
	s_nop 0                                                    // 0000000283C8: BF800000
	v_cndmask_b32_e64 v123, v66, v123, s[40:41]                // 0000000283CC: D100007B 00A2F742
	v_cmp_le_u32_e64 s[40:41], v240, v64                       // 0000000283D4: D0CB0028 000281F0
	v_add_u32_e32 v240, 64, v240                               // 0000000283DC: 69E1E0C0
	s_nop 0                                                    // 0000000283E0: BF800000
	v_cndmask_b32_e64 v124, v66, v124, s[40:41]                // 0000000283E4: D100007C 00A2F942
	v_cmp_le_u32_e64 s[40:41], v241, v64                       // 0000000283EC: D0CB0028 000281F1
	v_add_u32_e32 v241, 64, v241                               // 0000000283F4: 69E3E2C0
	s_nop 0                                                    // 0000000283F8: BF800000
	v_cndmask_b32_e64 v125, v66, v125, s[40:41]                // 0000000283FC: D100007D 00A2FB42
	v_cmp_le_u32_e64 s[40:41], v242, v64                       // 000000028404: D0CB0028 000281F2
	v_add_u32_e32 v242, 64, v242                               // 00000002840C: 69E5E4C0
	s_nop 0                                                    // 000000028410: BF800000
	v_cndmask_b32_e64 v126, v66, v126, s[40:41]                // 000000028414: D100007E 00A2FD42
	v_cmp_le_u32_e64 s[40:41], v243, v64                       // 00000002841C: D0CB0028 000281F3
	v_add_u32_e32 v243, 64, v243                               // 000000028424: 69E7E6C0
	s_nop 0                                                    // 000000028428: BF800000
	v_cndmask_b32_e64 v127, v66, v127, s[40:41]                // 00000002842C: D100007F 00A2FF42

0000000000028434 <label_988D>:
	v_mov_b32_e32 v48, v112                                    // 000000028434: 7E600370
	v_max3_f32 v48, v112, v113, v48                            // 000000028438: D1D30030 04C2E370
	v_max3_f32 v48, v114, v115, v48                            // 000000028440: D1D30030 04C2E772
	v_max3_f32 v48, v116, v117, v48                            // 000000028448: D1D30030 04C2EB74
	v_max3_f32 v48, v118, v119, v48                            // 000000028450: D1D30030 04C2EF76
	v_max3_f32 v48, v120, v121, v48                            // 000000028458: D1D30030 04C2F378
	v_max3_f32 v48, v122, v123, v48                            // 000000028460: D1D30030 04C2F77A
	v_max3_f32 v48, v124, v125, v48                            // 000000028468: D1D30030 04C2FB7C
	v_max3_f32 v48, v126, v127, v48                            // 000000028470: D1D30030 04C2FF7E
	ds_write_b32 v8, v48 offset:16896                          // 000000028478: D81A4200 00003008
	buffer_load_dwordx4 a[24:27], v25, s[16:19], 0 offen       // 000000028480: E05C1000 80841819
	v_mul_u32_u24_dpp v64, v16, v54 row_newbcast:1 row_mask:0xf bank_mask:0xf// 000000028488: 10806CFA FF015110
	v_mul_u32_u24_dpp v65, v16, v54 row_newbcast:5 row_mask:0xf bank_mask:0xf// 000000028490: 10826CFA FF015510
	v_mul_u32_u24_dpp v66, v16, v54 row_newbcast:9 row_mask:0xf bank_mask:0xf// 000000028498: 10846CFA FF015910
	v_mul_u32_u24_dpp v67, v16, v54 row_newbcast:13 row_mask:0xf bank_mask:0xf// 0000000284A0: 10866CFA FF015D10
	v_add_u32_e32 v30, v64, v6                                 // 0000000284A8: 683C0D40
	v_add_u32_e32 v31, v65, v6                                 // 0000000284AC: 683E0D41
	v_add_u32_e32 v32, v66, v6                                 // 0000000284B0: 68400D42
	v_add_u32_e32 v33, v67, v6                                 // 0000000284B4: 68420D43
	v_mul_f32_e32 v208, v49, v208                              // 0000000284B8: 0BA1A131
	v_mul_f32_e32 v209, v49, v209                              // 0000000284BC: 0BA3A331
	v_mul_f32_e32 v210, v49, v210                              // 0000000284C0: 0BA5A531
	v_mul_f32_e32 v211, v49, v211                              // 0000000284C4: 0BA7A731
	v_mul_f32_e32 v212, v49, v212                              // 0000000284C8: 0BA9A931
	v_mul_f32_e32 v213, v49, v213                              // 0000000284CC: 0BABAB31
	v_mul_f32_e32 v214, v49, v214                              // 0000000284D0: 0BADAD31
	v_mul_f32_e32 v215, v49, v215                              // 0000000284D4: 0BAFAF31
	s_waitcnt lgkmcnt(0)                                       // 0000000284D8: BF8CC07F
	s_barrier                                                  // 0000000284DC: BF8A0000
	ds_read_b32 v64, v7 offset:16896                           // 0000000284E0: D86C4200 40000007
	ds_read_b32 v65, v7 offset:16960                           // 0000000284E8: D86C4240 41000007
	ds_read_b32 v66, v7 offset:17024                           // 0000000284F0: D86C4280 42000007
	ds_read_b32 v67, v7 offset:17088                           // 0000000284F8: D86C42C0 43000007
	ds_read_b32 v68, v7 offset:17152                           // 000000028500: D86C4300 44000007
	ds_read_b32 v69, v7 offset:17216                           // 000000028508: D86C4340 45000007
	ds_read_b32 v70, v7 offset:17280                           // 000000028510: D86C4380 46000007
	ds_read_b32 v71, v7 offset:17344                           // 000000028518: D86C43C0 47000007
	ds_read_b32 v72, v7 offset:17408                           // 000000028520: D86C4400 48000007
	ds_read_b32 v73, v7 offset:17472                           // 000000028528: D86C4440 49000007
	ds_read_b32 v74, v7 offset:17536                           // 000000028530: D86C4480 4A000007
	ds_read_b32 v75, v7 offset:17600                           // 000000028538: D86C44C0 4B000007
	ds_read_b32 v76, v7 offset:17664                           // 000000028540: D86C4500 4C000007
	ds_read_b32 v77, v7 offset:17728                           // 000000028548: D86C4540 4D000007
	ds_read_b32 v78, v7 offset:17792                           // 000000028550: D86C4580 4E000007
	ds_read_b32 v79, v7 offset:17856                           // 000000028558: D86C45C0 4F000007
	buffer_load_dwordx4 a[28:31], v25, s[16:19], 0 offen offset:1024// 000000028560: E05C1400 80841C19
	v_cvt_f32_i32_e32 v176, v176                               // 000000028568: 7F600BB0
	v_cvt_f32_i32_e32 v177, v177                               // 00000002856C: 7F620BB1
	v_cvt_f32_i32_e32 v178, v178                               // 000000028570: 7F640BB2
	v_cvt_f32_i32_e32 v179, v179                               // 000000028574: 7F660BB3
	v_cvt_f32_i32_e32 v180, v180                               // 000000028578: 7F680BB4
	v_cvt_f32_i32_e32 v181, v181                               // 00000002857C: 7F6A0BB5
	v_cvt_f32_i32_e32 v182, v182                               // 000000028580: 7F6C0BB6
	v_cvt_f32_i32_e32 v183, v183                               // 000000028584: 7F6E0BB7
	v_mul_f32_e32 v176, v44, v176                              // 000000028588: 0B61612C
	v_mul_f32_e32 v177, v44, v177                              // 00000002858C: 0B63632C
	v_mul_f32_e32 v178, v44, v178                              // 000000028590: 0B65652C
	v_mul_f32_e32 v179, v44, v179                              // 000000028594: 0B67672C
	v_mul_f32_e32 v180, v44, v180                              // 000000028598: 0B69692C
	v_mul_f32_e32 v181, v44, v181                              // 00000002859C: 0B6B6B2C
	v_mul_f32_e32 v182, v44, v182                              // 0000000285A0: 0B6D6D2C
	v_mul_f32_e32 v183, v44, v183                              // 0000000285A4: 0B6F6F2C
	s_waitcnt lgkmcnt(0)                                       // 0000000285A8: BF8CC07F
	v_max3_f32 v48, v64, v65, v48                              // 0000000285AC: D1D30030 04C28340
	v_max3_f32 v48, v66, v67, v48                              // 0000000285B4: D1D30030 04C28742
	v_max3_f32 v48, v68, v69, v48                              // 0000000285BC: D1D30030 04C28B44
	v_max3_f32 v48, v70, v71, v48                              // 0000000285C4: D1D30030 04C28F46
	v_max3_f32 v48, v72, v73, v48                              // 0000000285CC: D1D30030 04C29348
	v_max3_f32 v48, v74, v75, v48                              // 0000000285D4: D1D30030 04C2974A
	v_max3_f32 v48, v76, v77, v48                              // 0000000285DC: D1D30030 04C29B4C
	v_max3_f32 v48, v78, v79, v48                              // 0000000285E4: D1D30030 04C29F4E
	buffer_load_dwordx4 a[64:67], v30, s[20:23], 0 offen       // 0000000285EC: E05C1000 8085401E
	v_mov_b32_e32 v64, 0xff800000                              // 0000000285F4: 7E8002FF FF800000
	v_cmp_eq_u32_e64 s[40:41], v64, v11                        // 0000000285FC: D0CA0028 00021740
	s_nop 1                                                    // 000000028604: BF800001
	v_max_f32_e32 v15, v48, v11                                // 000000028608: 161E1730
	v_mul_f32_e32 v53, s64, v15                                // 00000002860C: 0A6A1E40
	v_fma_f32 v112, v112, s64, -v53                            // 000000028610: D1CB0070 84D48170
	v_fma_f32 v113, v113, s64, -v53                            // 000000028618: D1CB0071 84D48171
	v_fma_f32 v114, v114, s64, -v53                            // 000000028620: D1CB0072 84D48172
	v_fma_f32 v115, v115, s64, -v53                            // 000000028628: D1CB0073 84D48173
	v_fma_f32 v116, v116, s64, -v53                            // 000000028630: D1CB0074 84D48174
	v_fma_f32 v117, v117, s64, -v53                            // 000000028638: D1CB0075 84D48175
	v_fma_f32 v118, v118, s64, -v53                            // 000000028640: D1CB0076 84D48176
	v_fma_f32 v119, v119, s64, -v53                            // 000000028648: D1CB0077 84D48177
	v_fma_f32 v120, v120, s64, -v53                            // 000000028650: D1CB0078 84D48178
	v_fma_f32 v121, v121, s64, -v53                            // 000000028658: D1CB0079 84D48179
	v_fma_f32 v122, v122, s64, -v53                            // 000000028660: D1CB007A 84D4817A
	v_fma_f32 v123, v123, s64, -v53                            // 000000028668: D1CB007B 84D4817B
	v_fma_f32 v124, v124, s64, -v53                            // 000000028670: D1CB007C 84D4817C
	v_fma_f32 v125, v125, s64, -v53                            // 000000028678: D1CB007D 84D4817D
	v_fma_f32 v126, v126, s64, -v53                            // 000000028680: D1CB007E 84D4817E
	v_fma_f32 v127, v127, s64, -v53                            // 000000028688: D1CB007F 84D4817F
	buffer_load_dwordx4 a[68:71], v31, s[20:23], 0 offen       // 000000028690: E05C1000 8085441F
	v_exp_f32_e32 v112, v112                                   // 000000028698: 7EE04170
	v_exp_f32_e32 v113, v113                                   // 00000002869C: 7EE24171
	v_exp_f32_e32 v114, v114                                   // 0000000286A0: 7EE44172
	v_exp_f32_e32 v115, v115                                   // 0000000286A4: 7EE64173
	v_exp_f32_e32 v116, v116                                   // 0000000286A8: 7EE84174
	v_exp_f32_e32 v117, v117                                   // 0000000286AC: 7EEA4175
	v_exp_f32_e32 v118, v118                                   // 0000000286B0: 7EEC4176
	v_exp_f32_e32 v119, v119                                   // 0000000286B4: 7EEE4177
	v_exp_f32_e32 v120, v120                                   // 0000000286B8: 7EF04178
	v_exp_f32_e32 v121, v121                                   // 0000000286BC: 7EF24179
	v_exp_f32_e32 v122, v122                                   // 0000000286C0: 7EF4417A
	v_exp_f32_e32 v123, v123                                   // 0000000286C4: 7EF6417B
	v_exp_f32_e32 v124, v124                                   // 0000000286C8: 7EF8417C
	v_exp_f32_e32 v125, v125                                   // 0000000286CC: 7EFA417D
	v_exp_f32_e32 v126, v126                                   // 0000000286D0: 7EFC417E
	v_exp_f32_e32 v127, v127                                   // 0000000286D4: 7EFE417F
	buffer_load_dwordx4 a[72:75], v32, s[20:23], 0 offen       // 0000000286D8: E05C1000 80854820
	v_mul_f32_dpp v240, v252, v112 quad_perm:[0,0,0,0] row_mask:0xf bank_mask:0xf// 0000000286E0: 0BE0E0FA FF0000FC
	v_mul_f32_dpp v241, v252, v113 quad_perm:[1,1,1,1] row_mask:0xf bank_mask:0xf// 0000000286E8: 0BE2E2FA FF0055FC
	v_mul_f32_dpp v242, v252, v114 quad_perm:[2,2,2,2] row_mask:0xf bank_mask:0xf// 0000000286F0: 0BE4E4FA FF00AAFC
	v_mul_f32_dpp v243, v252, v115 quad_perm:[3,3,3,3] row_mask:0xf bank_mask:0xf// 0000000286F8: 0BE6E6FA FF00FFFC
	v_mul_f32_dpp v244, v253, v116 quad_perm:[0,0,0,0] row_mask:0xf bank_mask:0xf// 000000028700: 0BE8E8FA FF0000FD
	v_mul_f32_dpp v245, v253, v117 quad_perm:[1,1,1,1] row_mask:0xf bank_mask:0xf// 000000028708: 0BEAEAFA FF0055FD
	v_mul_f32_dpp v246, v253, v118 quad_perm:[2,2,2,2] row_mask:0xf bank_mask:0xf// 000000028710: 0BECECFA FF00AAFD
	v_mul_f32_dpp v247, v253, v119 quad_perm:[3,3,3,3] row_mask:0xf bank_mask:0xf// 000000028718: 0BEEEEFA FF00FFFD
	v_mul_f32_dpp v248, v254, v120 quad_perm:[0,0,0,0] row_mask:0xf bank_mask:0xf// 000000028720: 0BF0F0FA FF0000FE
	v_mul_f32_dpp v249, v254, v121 quad_perm:[1,1,1,1] row_mask:0xf bank_mask:0xf// 000000028728: 0BF2F2FA FF0055FE
	v_mul_f32_dpp v250, v254, v122 quad_perm:[2,2,2,2] row_mask:0xf bank_mask:0xf// 000000028730: 0BF4F4FA FF00AAFE
	v_mul_f32_dpp v251, v254, v123 quad_perm:[3,3,3,3] row_mask:0xf bank_mask:0xf// 000000028738: 0BF6F6FA FF00FFFE
	v_mul_f32_dpp v252, v255, v124 quad_perm:[0,0,0,0] row_mask:0xf bank_mask:0xf// 000000028740: 0BF8F8FA FF0000FF
	v_mul_f32_dpp v253, v255, v125 quad_perm:[1,1,1,1] row_mask:0xf bank_mask:0xf// 000000028748: 0BFAFAFA FF0055FF
	v_mul_f32_dpp v254, v255, v126 quad_perm:[2,2,2,2] row_mask:0xf bank_mask:0xf// 000000028750: 0BFCFCFA FF00AAFF
	v_mul_f32_dpp v255, v255, v127 quad_perm:[3,3,3,3] row_mask:0xf bank_mask:0xf// 000000028758: 0BFEFEFA FF00FFFF
	v_mov_b32_e32 v48, 0x358637bd                              // 000000028760: 7E6002FF 358637BD
	v_max3_f32 v48, |v240|, |v241|, v48                        // 000000028768: D1D30330 04C3E3F0
	v_max3_f32 v48, |v242|, |v243|, v48                        // 000000028770: D1D30330 04C3E7F2
	v_max3_f32 v48, |v244|, |v245|, v48                        // 000000028778: D1D30330 04C3EBF4
	v_max3_f32 v48, |v246|, |v247|, v48                        // 000000028780: D1D30330 04C3EFF6
	v_max3_f32 v48, |v248|, |v249|, v48                        // 000000028788: D1D30330 04C3F3F8
	v_max3_f32 v48, |v250|, |v251|, v48                        // 000000028790: D1D30330 04C3F7FA
	v_max3_f32 v48, |v252|, |v253|, v48                        // 000000028798: D1D30330 04C3FBFC
	v_max3_f32 v48, |v254|, |v255|, v48                        // 0000000287A0: D1D30330 04C3FFFE
	buffer_load_dwordx4 a[76:79], v33, s[20:23], 0 offen       // 0000000287A8: E05C1000 80854C21
	ds_write_b32 v8, v48 offset:20992                          // 0000000287B0: D81A5200 00003008
	v_sub_f32_e32 v49, v11, v15                                // 0000000287B8: 04621F0B
	v_cndmask_b32_e64 v49, v49, 0, s[40:41]                    // 0000000287BC: D1000031 00A10131
	v_mov_b32_e32 v11, v15                                     // 0000000287C4: 7E16030F
	v_mul_f32_e32 v49, s64, v49                                // 0000000287C8: 0A626240
	v_exp_f32_e32 v49, v49                                     // 0000000287CC: 7E624131
	s_waitcnt lgkmcnt(0)                                       // 0000000287D0: BF8CC07F
	s_barrier                                                  // 0000000287D4: BF8A0000
	ds_read_b32 v64, v7 offset:20992                           // 0000000287D8: D86C5200 40000007
	ds_read_b32 v65, v7 offset:21056                           // 0000000287E0: D86C5240 41000007
	ds_read_b32 v66, v7 offset:21120                           // 0000000287E8: D86C5280 42000007
	ds_read_b32 v67, v7 offset:21184                           // 0000000287F0: D86C52C0 43000007
	ds_read_b32 v68, v7 offset:21248                           // 0000000287F8: D86C5300 44000007
	ds_read_b32 v69, v7 offset:21312                           // 000000028800: D86C5340 45000007
	ds_read_b32 v70, v7 offset:21376                           // 000000028808: D86C5380 46000007
	ds_read_b32 v71, v7 offset:21440                           // 000000028810: D86C53C0 47000007
	ds_read_b32 v72, v7 offset:21504                           // 000000028818: D86C5400 48000007
	ds_read_b32 v73, v7 offset:21568                           // 000000028820: D86C5440 49000007
	ds_read_b32 v74, v7 offset:21632                           // 000000028828: D86C5480 4A000007
	ds_read_b32 v75, v7 offset:21696                           // 000000028830: D86C54C0 4B000007
	ds_read_b32 v76, v7 offset:21760                           // 000000028838: D86C5500 4C000007
	ds_read_b32 v77, v7 offset:21824                           // 000000028840: D86C5540 4D000007
	ds_read_b32 v78, v7 offset:21888                           // 000000028848: D86C5580 4E000007
	ds_read_b32 v79, v7 offset:21952                           // 000000028850: D86C55C0 4F000007
	v_mul_f32_e32 v38, v49, v38                                // 000000028858: 0A4C4D31
	v_mov_b32_e32 v15, v112                                    // 00000002885C: 7E1E0370
	v_add_f32_e32 v15, v113, v15                               // 000000028860: 021E1F71
	v_add_f32_e32 v15, v114, v15                               // 000000028864: 021E1F72
	v_add_f32_e32 v15, v115, v15                               // 000000028868: 021E1F73
	v_add_f32_e32 v15, v116, v15                               // 00000002886C: 021E1F74
	v_add_f32_e32 v15, v117, v15                               // 000000028870: 021E1F75
	v_add_f32_e32 v15, v118, v15                               // 000000028874: 021E1F76
	v_add_f32_e32 v15, v119, v15                               // 000000028878: 021E1F77
	v_add_f32_e32 v15, v120, v15                               // 00000002887C: 021E1F78
	v_add_f32_e32 v15, v121, v15                               // 000000028880: 021E1F79
	v_add_f32_e32 v15, v122, v15                               // 000000028884: 021E1F7A
	v_add_f32_e32 v15, v123, v15                               // 000000028888: 021E1F7B
	v_add_f32_e32 v15, v124, v15                               // 00000002888C: 021E1F7C
	v_add_f32_e32 v15, v125, v15                               // 000000028890: 021E1F7D
	v_add_f32_e32 v15, v126, v15                               // 000000028894: 021E1F7E
	v_add_f32_e32 v15, v127, v15                               // 000000028898: 021E1F7F
	v_add_f32_e32 v38, v15, v38                                // 00000002889C: 024C4D0F
	s_waitcnt lgkmcnt(0)                                       // 0000000288A0: BF8CC07F
	v_max3_f32 v48, |v64|, |v65|, v48                          // 0000000288A4: D1D30330 04C28340
	v_max3_f32 v48, |v66|, |v67|, v48                          // 0000000288AC: D1D30330 04C28742
	v_max3_f32 v48, |v68|, |v69|, v48                          // 0000000288B4: D1D30330 04C28B44
	v_max3_f32 v48, |v70|, |v71|, v48                          // 0000000288BC: D1D30330 04C28F46
	v_max3_f32 v48, |v72|, |v73|, v48                          // 0000000288C4: D1D30330 04C29348
	v_max3_f32 v48, |v74|, |v75|, v48                          // 0000000288CC: D1D30330 04C2974A
	v_max3_f32 v48, |v76|, |v77|, v48                          // 0000000288D4: D1D30330 04C29B4C
	v_max3_f32 v48, |v78|, |v79|, v48                          // 0000000288DC: D1D30330 04C29F4E
	s_nop 2                                                    // 0000000288E4: BF800002
	v_rcp_f32_e32 v48, v48                                     // 0000000288E8: 7E604530
	s_nop 1                                                    // 0000000288EC: BF800001
	v_mul_f32_e32 v48, 0x42fe0000, v48                         // 0000000288F0: 0A6060FF 42FE0000
	v_mul_f32_e32 v112, v48, v240                              // 0000000288F8: 0AE1E130
	v_mul_f32_e32 v113, v48, v241                              // 0000000288FC: 0AE3E330
	v_mul_f32_e32 v114, v48, v242                              // 000000028900: 0AE5E530
	v_mul_f32_e32 v115, v48, v243                              // 000000028904: 0AE7E730
	v_mul_f32_e32 v116, v48, v244                              // 000000028908: 0AE9E930
	v_mul_f32_e32 v117, v48, v245                              // 00000002890C: 0AEBEB30
	v_mul_f32_e32 v118, v48, v246                              // 000000028910: 0AEDED30
	v_mul_f32_e32 v119, v48, v247                              // 000000028914: 0AEFEF30
	v_mul_f32_e32 v120, v48, v248                              // 000000028918: 0AF1F130
	v_mul_f32_e32 v121, v48, v249                              // 00000002891C: 0AF3F330
	v_mul_f32_e32 v122, v48, v250                              // 000000028920: 0AF5F530
	v_mul_f32_e32 v123, v48, v251                              // 000000028924: 0AF7F730
	v_mul_f32_e32 v124, v48, v252                              // 000000028928: 0AF9F930
	v_mul_f32_e32 v125, v48, v253                              // 00000002892C: 0AFBFB30
	v_mul_f32_e32 v126, v48, v254                              // 000000028930: 0AFDFD30
	v_mul_f32_e32 v127, v48, v255                              // 000000028934: 0AFFFF30
	v_cvt_i32_f32_e32 v112, v112                               // 000000028938: 7EE01170
	v_cvt_i32_f32_e32 v113, v113                               // 00000002893C: 7EE21171
	v_cvt_i32_f32_e32 v114, v114                               // 000000028940: 7EE41172
	v_cvt_i32_f32_e32 v115, v115                               // 000000028944: 7EE61173
	v_cvt_i32_f32_e32 v116, v116                               // 000000028948: 7EE81174
	v_cvt_i32_f32_e32 v117, v117                               // 00000002894C: 7EEA1175
	v_cvt_i32_f32_e32 v118, v118                               // 000000028950: 7EEC1176
	v_cvt_i32_f32_e32 v119, v119                               // 000000028954: 7EEE1177
	v_cvt_i32_f32_e32 v120, v120                               // 000000028958: 7EF01178
	v_cvt_i32_f32_e32 v121, v121                               // 00000002895C: 7EF21179
	v_cvt_i32_f32_e32 v122, v122                               // 000000028960: 7EF4117A
	v_cvt_i32_f32_e32 v123, v123                               // 000000028964: 7EF6117B
	v_cvt_i32_f32_e32 v124, v124                               // 000000028968: 7EF8117C
	v_cvt_i32_f32_e32 v125, v125                               // 00000002896C: 7EFA117D
	v_cvt_i32_f32_e32 v126, v126                               // 000000028970: 7EFC117E
	v_cvt_i32_f32_e32 v127, v127                               // 000000028974: 7EFE117F
	v_perm_b32 v112, v113, v112, s53                           // 000000028978: D1ED0070 00D6E171
	v_perm_b32 v112, v114, v112, s54                           // 000000028980: D1ED0070 00DAE172
	v_perm_b32 v112, v115, v112, s55                           // 000000028988: D1ED0070 00DEE173
	v_perm_b32 v113, v117, v116, s53                           // 000000028990: D1ED0071 00D6E975
	v_perm_b32 v113, v118, v113, s54                           // 000000028998: D1ED0071 00DAE376
	v_perm_b32 v113, v119, v113, s55                           // 0000000289A0: D1ED0071 00DEE377
	v_perm_b32 v114, v121, v120, s53                           // 0000000289A8: D1ED0072 00D6F179
	v_perm_b32 v114, v122, v114, s54                           // 0000000289B0: D1ED0072 00DAE57A
	v_perm_b32 v114, v123, v114, s55                           // 0000000289B8: D1ED0072 00DEE57B
	v_perm_b32 v115, v125, v124, s53                           // 0000000289C0: D1ED0073 00D6F97D
	v_perm_b32 v115, v126, v115, s54                           // 0000000289C8: D1ED0073 00DAE77E
	v_perm_b32 v115, v127, v115, s55                           // 0000000289D0: D1ED0073 00DEE77F
	ds_write_b32 v10, v112 offset:25088                        // 0000000289D8: D81A6200 0000700A
	ds_write_b32 v10, v113 offset:26112                        // 0000000289E0: D81A6600 0000710A
	ds_write_b32 v10, v114 offset:27136                        // 0000000289E8: D81A6A00 0000720A
	ds_write_b32 v10, v115 offset:28160                        // 0000000289F0: D81A6E00 0000730A
	v_add_f32_e32 v208, v208, v176                             // 0000000289F8: 03A161D0
	v_add_f32_e32 v209, v209, v177                             // 0000000289FC: 03A363D1
	v_add_f32_e32 v210, v210, v178                             // 000000028A00: 03A565D2
	v_add_f32_e32 v211, v211, v179                             // 000000028A04: 03A767D3
	v_add_f32_e32 v212, v212, v180                             // 000000028A08: 03A969D4
	v_add_f32_e32 v213, v213, v181                             // 000000028A0C: 03AB6BD5
	v_add_f32_e32 v214, v214, v182                             // 000000028A10: 03AD6DD6
	v_add_f32_e32 v215, v215, v183                             // 000000028A14: 03AF6FD7
	v_rcp_f32_e32 v44, v48                                     // 000000028A18: 7E584530
	s_waitcnt lgkmcnt(0)                                       // 000000028A1C: BF8CC07F
	s_barrier                                                  // 000000028A20: BF8A0000
	ds_read_b64 v[112:113], v9 offset:25088                    // 000000028A24: D8EC6200 70000009
	ds_read_b64 v[114:115], v9 offset:25216                    // 000000028A2C: D8EC6280 72000009
	ds_read_b64 v[116:117], v9 offset:26112                    // 000000028A34: D8EC6600 74000009
	ds_read_b64 v[118:119], v9 offset:26240                    // 000000028A3C: D8EC6680 76000009
	ds_read_b64 v[120:121], v9 offset:27136                    // 000000028A44: D8EC6A00 78000009
	ds_read_b64 v[122:123], v9 offset:27264                    // 000000028A4C: D8EC6A80 7A000009
	ds_read_b64 v[124:125], v9 offset:28160                    // 000000028A54: D8EC6E00 7C000009
	ds_read_b64 v[126:127], v9 offset:28288                    // 000000028A5C: D8EC6E80 7E000009
	v_mov_b32_dpp v64, v43 row_shr:4 row_mask:0xf bank_mask:0xf// 000000028A64: 7E8002FA FF01142B
	v_mov_b32_dpp v65, v43 row_shl:4 row_mask:0xf bank_mask:0xf// 000000028A6C: 7E8202FA FF01042B
	v_cndmask_b32_e64 v248, v43, v64, s[44:45]                 // 000000028A74: D10000F8 00B2812B
	v_cndmask_b32_e64 v249, v65, v43, s[44:45]                 // 000000028A7C: D10000F9 00B25741
	v_mov_b32_dpp v64, v248 row_shr:8 row_mask:0xf bank_mask:0xf// 000000028A84: 7E8002FA FF0118F8
	v_mov_b32_dpp v65, v248 row_shl:8 row_mask:0xf bank_mask:0xf// 000000028A8C: 7E8202FA FF0108F8
	v_mov_b32_dpp v66, v249 row_shr:8 row_mask:0xf bank_mask:0xf// 000000028A94: 7E8402FA FF0118F9
	v_mov_b32_dpp v67, v249 row_shl:8 row_mask:0xf bank_mask:0xf// 000000028A9C: 7E8602FA FF0108F9
	v_mov_b32_e32 v68, v248                                    // 000000028AA4: 7E8803F8
	v_mov_b32_e32 v69, v249                                    // 000000028AA8: 7E8A03F9
	v_cndmask_b32_e64 v248, v68, v64, s[42:43]                 // 000000028AAC: D10000F8 00AA8144
	v_cndmask_b32_e64 v250, v68, v65, s[78:79]                 // 000000028AB4: D10000FA 013A8344
	v_cndmask_b32_e64 v249, v69, v66, s[42:43]                 // 000000028ABC: D10000F9 00AA8545
	v_cndmask_b32_e64 v251, v69, v67, s[78:79]                 // 000000028AC4: D10000FB 013A8745
	v_mov_b32_dpp v64, v58 row_shr:4 row_mask:0xf bank_mask:0xf// 000000028ACC: 7E8002FA FF01143A
	v_mov_b32_dpp v65, v58 row_shl:4 row_mask:0xf bank_mask:0xf// 000000028AD4: 7E8202FA FF01043A
	v_cndmask_b32_e64 v252, v58, v64, s[44:45]                 // 000000028ADC: D10000FC 00B2813A
	v_cndmask_b32_e64 v253, v65, v58, s[44:45]                 // 000000028AE4: D10000FD 00B27541
	v_mov_b32_dpp v64, v252 row_shr:8 row_mask:0xf bank_mask:0xf// 000000028AEC: 7E8002FA FF0118FC
	v_mov_b32_dpp v65, v252 row_shl:8 row_mask:0xf bank_mask:0xf// 000000028AF4: 7E8202FA FF0108FC
	v_mov_b32_dpp v66, v253 row_shr:8 row_mask:0xf bank_mask:0xf// 000000028AFC: 7E8402FA FF0118FD
	v_mov_b32_dpp v67, v253 row_shl:8 row_mask:0xf bank_mask:0xf// 000000028B04: 7E8602FA FF0108FD
	v_mov_b32_e32 v68, v252                                    // 000000028B0C: 7E8803FC
	v_mov_b32_e32 v69, v253                                    // 000000028B10: 7E8A03FD
	v_cndmask_b32_e64 v252, v68, v64, s[42:43]                 // 000000028B14: D10000FC 00AA8144
	v_cndmask_b32_e64 v254, v68, v65, s[78:79]                 // 000000028B1C: D10000FE 013A8344
	v_cndmask_b32_e64 v253, v69, v66, s[42:43]                 // 000000028B24: D10000FD 00AA8545
	v_cndmask_b32_e64 v255, v69, v67, s[78:79]                 // 000000028B2C: D10000FF 013A8745
	v_cvt_f32_i32_e32 v128, v128                               // 000000028B34: 7F000B80
	v_cvt_f32_i32_e32 v129, v129                               // 000000028B38: 7F020B81
	v_cvt_f32_i32_e32 v130, v130                               // 000000028B3C: 7F040B82
	v_cvt_f32_i32_e32 v131, v131                               // 000000028B40: 7F060B83
	v_cvt_f32_i32_e32 v132, v132                               // 000000028B44: 7F080B84
	v_cvt_f32_i32_e32 v133, v133                               // 000000028B48: 7F0A0B85
	v_cvt_f32_i32_e32 v134, v134                               // 000000028B4C: 7F0C0B86
	v_cvt_f32_i32_e32 v135, v135                               // 000000028B50: 7F0E0B87
	v_cvt_f32_i32_e32 v136, v136                               // 000000028B54: 7F100B88
	v_cvt_f32_i32_e32 v137, v137                               // 000000028B58: 7F120B89
	v_cvt_f32_i32_e32 v138, v138                               // 000000028B5C: 7F140B8A
	v_cvt_f32_i32_e32 v139, v139                               // 000000028B60: 7F160B8B
	v_cvt_f32_i32_e32 v140, v140                               // 000000028B64: 7F180B8C
	v_cvt_f32_i32_e32 v141, v141                               // 000000028B68: 7F1A0B8D
	v_cvt_f32_i32_e32 v142, v142                               // 000000028B6C: 7F1C0B8E
	v_cvt_f32_i32_e32 v143, v143                               // 000000028B70: 7F1E0B8F
	v_mul_f32_e32 v128, v19, v128                              // 000000028B74: 0B010113
	v_mul_f32_e32 v129, v19, v129                              // 000000028B78: 0B030313
	v_mul_f32_e32 v130, v19, v130                              // 000000028B7C: 0B050513
	v_mul_f32_e32 v131, v19, v131                              // 000000028B80: 0B070713
	v_mul_f32_e32 v132, v19, v132                              // 000000028B84: 0B090913
	v_mul_f32_e32 v133, v19, v133                              // 000000028B88: 0B0B0B13
	v_mul_f32_e32 v134, v19, v134                              // 000000028B8C: 0B0D0D13
	v_mul_f32_e32 v135, v19, v135                              // 000000028B90: 0B0F0F13
	v_mul_f32_e32 v136, v19, v136                              // 000000028B94: 0B111113
	v_mul_f32_e32 v137, v19, v137                              // 000000028B98: 0B131313
	v_mul_f32_e32 v138, v19, v138                              // 000000028B9C: 0B151513
	v_mul_f32_e32 v139, v19, v139                              // 000000028BA0: 0B171713
	v_mul_f32_e32 v140, v19, v140                              // 000000028BA4: 0B191913
	v_mul_f32_e32 v141, v19, v141                              // 000000028BA8: 0B1B1B13
	v_mul_f32_e32 v142, v19, v142                              // 000000028BAC: 0B1D1D13
	v_mul_f32_e32 v143, v19, v143                              // 000000028BB0: 0B1F1F13
	v_mul_f32_dpp v128, v248, v128 quad_perm:[0,0,0,0] row_mask:0xf bank_mask:0xf// 000000028BB4: 0B0100FA FF0000F8
	v_mul_f32_dpp v129, v248, v129 quad_perm:[1,1,1,1] row_mask:0xf bank_mask:0xf// 000000028BBC: 0B0302FA FF0055F8
	v_mul_f32_dpp v130, v248, v130 quad_perm:[2,2,2,2] row_mask:0xf bank_mask:0xf// 000000028BC4: 0B0504FA FF00AAF8
	v_mul_f32_dpp v131, v248, v131 quad_perm:[3,3,3,3] row_mask:0xf bank_mask:0xf// 000000028BCC: 0B0706FA FF00FFF8
	v_mul_f32_dpp v132, v249, v132 quad_perm:[0,0,0,0] row_mask:0xf bank_mask:0xf// 000000028BD4: 0B0908FA FF0000F9
	v_mul_f32_dpp v133, v249, v133 quad_perm:[1,1,1,1] row_mask:0xf bank_mask:0xf// 000000028BDC: 0B0B0AFA FF0055F9
	v_mul_f32_dpp v134, v249, v134 quad_perm:[2,2,2,2] row_mask:0xf bank_mask:0xf// 000000028BE4: 0B0D0CFA FF00AAF9
	v_mul_f32_dpp v135, v249, v135 quad_perm:[3,3,3,3] row_mask:0xf bank_mask:0xf// 000000028BEC: 0B0F0EFA FF00FFF9
	v_mul_f32_dpp v136, v250, v136 quad_perm:[0,0,0,0] row_mask:0xf bank_mask:0xf// 000000028BF4: 0B1110FA FF0000FA
	v_mul_f32_dpp v137, v250, v137 quad_perm:[1,1,1,1] row_mask:0xf bank_mask:0xf// 000000028BFC: 0B1312FA FF0055FA
	v_mul_f32_dpp v138, v250, v138 quad_perm:[2,2,2,2] row_mask:0xf bank_mask:0xf// 000000028C04: 0B1514FA FF00AAFA
	v_mul_f32_dpp v139, v250, v139 quad_perm:[3,3,3,3] row_mask:0xf bank_mask:0xf// 000000028C0C: 0B1716FA FF00FFFA
	v_mul_f32_dpp v140, v251, v140 quad_perm:[0,0,0,0] row_mask:0xf bank_mask:0xf// 000000028C14: 0B1918FA FF0000FB
	v_mul_f32_dpp v141, v251, v141 quad_perm:[1,1,1,1] row_mask:0xf bank_mask:0xf// 000000028C1C: 0B1B1AFA FF0055FB
	v_mul_f32_dpp v142, v251, v142 quad_perm:[2,2,2,2] row_mask:0xf bank_mask:0xf// 000000028C24: 0B1D1CFA FF00AAFB
	v_mul_f32_dpp v143, v251, v143 quad_perm:[3,3,3,3] row_mask:0xf bank_mask:0xf// 000000028C2C: 0B1F1EFA FF00FFFB
	s_cmp_le_i32 s90, s89                                      // 000000028C34: BF05595A
	s_cbranch_scc1 label_9B00                                  // 000000028C38: BF850071
	v_mov_b32_e32 v66, 0xff800000                              // 000000028C3C: 7E8402FF FF800000
	s_mov_b32 s60, s90                                         // 000000028C44: BEBC005A
	s_add_u32 s61, s89, 0xff                                   // 000000028C48: 803DFF59 000000FF
	v_mov_b32_e32 v64, s61                                     // 000000028C50: 7E80023D
	v_lshrrev_b32_e32 v240, 4, v0                              // 000000028C54: 21E00084
	v_mul_i32_i24_e32 v240, 4, v240                            // 000000028C58: 0DE1E084
	v_add_u32_e32 v240, s60, v240                              // 000000028C5C: 69E1E03C
	s_mov_b32 s61, 1                                           // 000000028C60: BEBD0081
	s_mul_i32 s60, 16, s7                                      // 000000028C64: 923C0790
	v_sub_u32_e64 v240, v240, s61                              // 000000028C68: D13500F0 00007BF0
	v_add_u32_e32 v240, s60, v240                              // 000000028C70: 69E1E03C
	v_add_u32_e32 v241, 1, v240                                // 000000028C74: 69E3E081
	v_add_u32_e32 v242, 2, v240                                // 000000028C78: 69E5E082
	v_add_u32_e32 v243, 3, v240                                // 000000028C7C: 69E7E083
	v_cmp_le_u32_e64 s[40:41], v240, v64                       // 000000028C80: D0CB0028 000281F0
	v_add_u32_e32 v240, 64, v240                               // 000000028C88: 69E1E0C0
	s_nop 0                                                    // 000000028C8C: BF800000
	v_cndmask_b32_e64 v128, v66, v128, s[40:41]                // 000000028C90: D1000080 00A30142
	v_cmp_le_u32_e64 s[40:41], v241, v64                       // 000000028C98: D0CB0028 000281F1
	v_add_u32_e32 v241, 64, v241                               // 000000028CA0: 69E3E2C0
	s_nop 0                                                    // 000000028CA4: BF800000
	v_cndmask_b32_e64 v129, v66, v129, s[40:41]                // 000000028CA8: D1000081 00A30342
	v_cmp_le_u32_e64 s[40:41], v242, v64                       // 000000028CB0: D0CB0028 000281F2
	v_add_u32_e32 v242, 64, v242                               // 000000028CB8: 69E5E4C0
	s_nop 0                                                    // 000000028CBC: BF800000
	v_cndmask_b32_e64 v130, v66, v130, s[40:41]                // 000000028CC0: D1000082 00A30542
	v_cmp_le_u32_e64 s[40:41], v243, v64                       // 000000028CC8: D0CB0028 000281F3
	v_add_u32_e32 v243, 64, v243                               // 000000028CD0: 69E7E6C0
	s_nop 0                                                    // 000000028CD4: BF800000
	v_cndmask_b32_e64 v131, v66, v131, s[40:41]                // 000000028CD8: D1000083 00A30742
	v_cmp_le_u32_e64 s[40:41], v240, v64                       // 000000028CE0: D0CB0028 000281F0
	v_add_u32_e32 v240, 64, v240                               // 000000028CE8: 69E1E0C0
	s_nop 0                                                    // 000000028CEC: BF800000
	v_cndmask_b32_e64 v132, v66, v132, s[40:41]                // 000000028CF0: D1000084 00A30942
	v_cmp_le_u32_e64 s[40:41], v241, v64                       // 000000028CF8: D0CB0028 000281F1
	v_add_u32_e32 v241, 64, v241                               // 000000028D00: 69E3E2C0
	s_nop 0                                                    // 000000028D04: BF800000
	v_cndmask_b32_e64 v133, v66, v133, s[40:41]                // 000000028D08: D1000085 00A30B42
	v_cmp_le_u32_e64 s[40:41], v242, v64                       // 000000028D10: D0CB0028 000281F2
	v_add_u32_e32 v242, 64, v242                               // 000000028D18: 69E5E4C0
	s_nop 0                                                    // 000000028D1C: BF800000
	v_cndmask_b32_e64 v134, v66, v134, s[40:41]                // 000000028D20: D1000086 00A30D42
	v_cmp_le_u32_e64 s[40:41], v243, v64                       // 000000028D28: D0CB0028 000281F3
	v_add_u32_e32 v243, 64, v243                               // 000000028D30: 69E7E6C0
	s_nop 0                                                    // 000000028D34: BF800000
	v_cndmask_b32_e64 v135, v66, v135, s[40:41]                // 000000028D38: D1000087 00A30F42
	v_cmp_le_u32_e64 s[40:41], v240, v64                       // 000000028D40: D0CB0028 000281F0
	v_add_u32_e32 v240, 64, v240                               // 000000028D48: 69E1E0C0
	s_nop 0                                                    // 000000028D4C: BF800000
	v_cndmask_b32_e64 v136, v66, v136, s[40:41]                // 000000028D50: D1000088 00A31142
	v_cmp_le_u32_e64 s[40:41], v241, v64                       // 000000028D58: D0CB0028 000281F1
	v_add_u32_e32 v241, 64, v241                               // 000000028D60: 69E3E2C0
	s_nop 0                                                    // 000000028D64: BF800000
	v_cndmask_b32_e64 v137, v66, v137, s[40:41]                // 000000028D68: D1000089 00A31342
	v_cmp_le_u32_e64 s[40:41], v242, v64                       // 000000028D70: D0CB0028 000281F2
	v_add_u32_e32 v242, 64, v242                               // 000000028D78: 69E5E4C0
	s_nop 0                                                    // 000000028D7C: BF800000
	v_cndmask_b32_e64 v138, v66, v138, s[40:41]                // 000000028D80: D100008A 00A31542
	v_cmp_le_u32_e64 s[40:41], v243, v64                       // 000000028D88: D0CB0028 000281F3
	v_add_u32_e32 v243, 64, v243                               // 000000028D90: 69E7E6C0
	s_nop 0                                                    // 000000028D94: BF800000
	v_cndmask_b32_e64 v139, v66, v139, s[40:41]                // 000000028D98: D100008B 00A31742
	v_cmp_le_u32_e64 s[40:41], v240, v64                       // 000000028DA0: D0CB0028 000281F0
	v_add_u32_e32 v240, 64, v240                               // 000000028DA8: 69E1E0C0
	s_nop 0                                                    // 000000028DAC: BF800000
	v_cndmask_b32_e64 v140, v66, v140, s[40:41]                // 000000028DB0: D100008C 00A31942
	v_cmp_le_u32_e64 s[40:41], v241, v64                       // 000000028DB8: D0CB0028 000281F1
	v_add_u32_e32 v241, 64, v241                               // 000000028DC0: 69E3E2C0
	s_nop 0                                                    // 000000028DC4: BF800000
	v_cndmask_b32_e64 v141, v66, v141, s[40:41]                // 000000028DC8: D100008D 00A31B42
	v_cmp_le_u32_e64 s[40:41], v242, v64                       // 000000028DD0: D0CB0028 000281F2
	v_add_u32_e32 v242, 64, v242                               // 000000028DD8: 69E5E4C0
	s_nop 0                                                    // 000000028DDC: BF800000
	v_cndmask_b32_e64 v142, v66, v142, s[40:41]                // 000000028DE0: D100008E 00A31D42
	v_cmp_le_u32_e64 s[40:41], v243, v64                       // 000000028DE8: D0CB0028 000281F3
	v_add_u32_e32 v243, 64, v243                               // 000000028DF0: 69E7E6C0
	s_nop 0                                                    // 000000028DF4: BF800000
	v_cndmask_b32_e64 v143, v66, v143, s[40:41]                // 000000028DF8: D100008F 00A31F42

0000000000028e00 <label_9B00>:
	v_mov_b32_e32 v48, v128                                    // 000000028E00: 7E600380
	v_max3_f32 v48, v128, v129, v48                            // 000000028E04: D1D30030 04C30380
	v_max3_f32 v48, v130, v131, v48                            // 000000028E0C: D1D30030 04C30782
	v_max3_f32 v48, v132, v133, v48                            // 000000028E14: D1D30030 04C30B84
	v_max3_f32 v48, v134, v135, v48                            // 000000028E1C: D1D30030 04C30F86
	v_max3_f32 v48, v136, v137, v48                            // 000000028E24: D1D30030 04C31388
	v_max3_f32 v48, v138, v139, v48                            // 000000028E2C: D1D30030 04C3178A
	v_max3_f32 v48, v140, v141, v48                            // 000000028E34: D1D30030 04C31B8C
	v_max3_f32 v48, v142, v143, v48                            // 000000028E3C: D1D30030 04C31F8E
	ds_write_b32 v8, v48 offset:16896                          // 000000028E44: D81A4200 00003008
	v_mul_f32_e32 v216, v50, v216                              // 000000028E4C: 0BB1B132
	v_mul_f32_e32 v217, v50, v217                              // 000000028E50: 0BB3B332
	v_mul_f32_e32 v218, v50, v218                              // 000000028E54: 0BB5B532
	v_mul_f32_e32 v219, v50, v219                              // 000000028E58: 0BB7B732
	v_mul_f32_e32 v220, v50, v220                              // 000000028E5C: 0BB9B932
	v_mul_f32_e32 v221, v50, v221                              // 000000028E60: 0BBBBB32
	v_mul_f32_e32 v222, v50, v222                              // 000000028E64: 0BBDBD32
	v_mul_f32_e32 v223, v50, v223                              // 000000028E68: 0BBFBF32
	s_waitcnt lgkmcnt(0)                                       // 000000028E6C: BF8CC07F
	s_barrier                                                  // 000000028E70: BF8A0000
	ds_read_b32 v64, v7 offset:16896                           // 000000028E74: D86C4200 40000007
	ds_read_b32 v65, v7 offset:16960                           // 000000028E7C: D86C4240 41000007
	ds_read_b32 v66, v7 offset:17024                           // 000000028E84: D86C4280 42000007
	ds_read_b32 v67, v7 offset:17088                           // 000000028E8C: D86C42C0 43000007
	ds_read_b32 v68, v7 offset:17152                           // 000000028E94: D86C4300 44000007
	ds_read_b32 v69, v7 offset:17216                           // 000000028E9C: D86C4340 45000007
	ds_read_b32 v70, v7 offset:17280                           // 000000028EA4: D86C4380 46000007
	ds_read_b32 v71, v7 offset:17344                           // 000000028EAC: D86C43C0 47000007
	ds_read_b32 v72, v7 offset:17408                           // 000000028EB4: D86C4400 48000007
	ds_read_b32 v73, v7 offset:17472                           // 000000028EBC: D86C4440 49000007
	ds_read_b32 v74, v7 offset:17536                           // 000000028EC4: D86C4480 4A000007
	ds_read_b32 v75, v7 offset:17600                           // 000000028ECC: D86C44C0 4B000007
	ds_read_b32 v76, v7 offset:17664                           // 000000028ED4: D86C4500 4C000007
	ds_read_b32 v77, v7 offset:17728                           // 000000028EDC: D86C4540 4D000007
	ds_read_b32 v78, v7 offset:17792                           // 000000028EE4: D86C4580 4E000007
	ds_read_b32 v79, v7 offset:17856                           // 000000028EEC: D86C45C0 4F000007
	v_cvt_f32_i32_e32 v184, v184                               // 000000028EF4: 7F700BB8
	v_cvt_f32_i32_e32 v185, v185                               // 000000028EF8: 7F720BB9
	v_cvt_f32_i32_e32 v186, v186                               // 000000028EFC: 7F740BBA
	v_cvt_f32_i32_e32 v187, v187                               // 000000028F00: 7F760BBB
	v_cvt_f32_i32_e32 v188, v188                               // 000000028F04: 7F780BBC
	v_cvt_f32_i32_e32 v189, v189                               // 000000028F08: 7F7A0BBD
	v_cvt_f32_i32_e32 v190, v190                               // 000000028F0C: 7F7C0BBE
	v_cvt_f32_i32_e32 v191, v191                               // 000000028F10: 7F7E0BBF
	v_mul_f32_e32 v184, v45, v184                              // 000000028F14: 0B71712D
	v_mul_f32_e32 v185, v45, v185                              // 000000028F18: 0B73732D
	v_mul_f32_e32 v186, v45, v186                              // 000000028F1C: 0B75752D
	v_mul_f32_e32 v187, v45, v187                              // 000000028F20: 0B77772D
	v_mul_f32_e32 v188, v45, v188                              // 000000028F24: 0B79792D
	v_mul_f32_e32 v189, v45, v189                              // 000000028F28: 0B7B7B2D
	v_mul_f32_e32 v190, v45, v190                              // 000000028F2C: 0B7D7D2D
	v_mul_f32_e32 v191, v45, v191                              // 000000028F30: 0B7F7F2D
	s_waitcnt lgkmcnt(0)                                       // 000000028F34: BF8CC07F
	v_max3_f32 v48, v64, v65, v48                              // 000000028F38: D1D30030 04C28340
	v_max3_f32 v48, v66, v67, v48                              // 000000028F40: D1D30030 04C28742
	v_max3_f32 v48, v68, v69, v48                              // 000000028F48: D1D30030 04C28B44
	v_max3_f32 v48, v70, v71, v48                              // 000000028F50: D1D30030 04C28F46
	v_max3_f32 v48, v72, v73, v48                              // 000000028F58: D1D30030 04C29348
	v_max3_f32 v48, v74, v75, v48                              // 000000028F60: D1D30030 04C2974A
	v_max3_f32 v48, v76, v77, v48                              // 000000028F68: D1D30030 04C29B4C
	v_max3_f32 v48, v78, v79, v48                              // 000000028F70: D1D30030 04C29F4E
	v_mov_b32_e32 v64, 0xff800000                              // 000000028F78: 7E8002FF FF800000
	v_cmp_eq_u32_e64 s[40:41], v64, v12                        // 000000028F80: D0CA0028 00021940
	s_nop 1                                                    // 000000028F88: BF800001
	v_max_f32_e32 v15, v48, v12                                // 000000028F8C: 161E1930
	v_mul_f32_e32 v53, s64, v15                                // 000000028F90: 0A6A1E40
	v_fma_f32 v128, v128, s64, -v53                            // 000000028F94: D1CB0080 84D48180
	v_fma_f32 v129, v129, s64, -v53                            // 000000028F9C: D1CB0081 84D48181
	v_fma_f32 v130, v130, s64, -v53                            // 000000028FA4: D1CB0082 84D48182
	v_fma_f32 v131, v131, s64, -v53                            // 000000028FAC: D1CB0083 84D48183
	v_fma_f32 v132, v132, s64, -v53                            // 000000028FB4: D1CB0084 84D48184
	v_fma_f32 v133, v133, s64, -v53                            // 000000028FBC: D1CB0085 84D48185
	v_fma_f32 v134, v134, s64, -v53                            // 000000028FC4: D1CB0086 84D48186
	v_fma_f32 v135, v135, s64, -v53                            // 000000028FCC: D1CB0087 84D48187
	v_fma_f32 v136, v136, s64, -v53                            // 000000028FD4: D1CB0088 84D48188
	v_fma_f32 v137, v137, s64, -v53                            // 000000028FDC: D1CB0089 84D48189
	v_fma_f32 v138, v138, s64, -v53                            // 000000028FE4: D1CB008A 84D4818A
	v_fma_f32 v139, v139, s64, -v53                            // 000000028FEC: D1CB008B 84D4818B
	v_fma_f32 v140, v140, s64, -v53                            // 000000028FF4: D1CB008C 84D4818C
	v_fma_f32 v141, v141, s64, -v53                            // 000000028FFC: D1CB008D 84D4818D
	v_fma_f32 v142, v142, s64, -v53                            // 000000029004: D1CB008E 84D4818E
	v_fma_f32 v143, v143, s64, -v53                            // 00000002900C: D1CB008F 84D4818F
	v_exp_f32_e32 v128, v128                                   // 000000029014: 7F004180
	v_exp_f32_e32 v129, v129                                   // 000000029018: 7F024181
	v_exp_f32_e32 v130, v130                                   // 00000002901C: 7F044182
	v_exp_f32_e32 v131, v131                                   // 000000029020: 7F064183
	v_exp_f32_e32 v132, v132                                   // 000000029024: 7F084184
	v_exp_f32_e32 v133, v133                                   // 000000029028: 7F0A4185
	v_exp_f32_e32 v134, v134                                   // 00000002902C: 7F0C4186
	v_exp_f32_e32 v135, v135                                   // 000000029030: 7F0E4187
	v_exp_f32_e32 v136, v136                                   // 000000029034: 7F104188
	v_exp_f32_e32 v137, v137                                   // 000000029038: 7F124189
	v_exp_f32_e32 v138, v138                                   // 00000002903C: 7F14418A
	v_exp_f32_e32 v139, v139                                   // 000000029040: 7F16418B
	v_exp_f32_e32 v140, v140                                   // 000000029044: 7F18418C
	v_exp_f32_e32 v141, v141                                   // 000000029048: 7F1A418D
	v_exp_f32_e32 v142, v142                                   // 00000002904C: 7F1C418E
	v_exp_f32_e32 v143, v143                                   // 000000029050: 7F1E418F
	v_mul_f32_dpp v240, v252, v128 quad_perm:[0,0,0,0] row_mask:0xf bank_mask:0xf// 000000029054: 0BE100FA FF0000FC
	v_mul_f32_dpp v241, v252, v129 quad_perm:[1,1,1,1] row_mask:0xf bank_mask:0xf// 00000002905C: 0BE302FA FF0055FC
	v_mul_f32_dpp v242, v252, v130 quad_perm:[2,2,2,2] row_mask:0xf bank_mask:0xf// 000000029064: 0BE504FA FF00AAFC
	v_mul_f32_dpp v243, v252, v131 quad_perm:[3,3,3,3] row_mask:0xf bank_mask:0xf// 00000002906C: 0BE706FA FF00FFFC
	v_mul_f32_dpp v244, v253, v132 quad_perm:[0,0,0,0] row_mask:0xf bank_mask:0xf// 000000029074: 0BE908FA FF0000FD
	v_mul_f32_dpp v245, v253, v133 quad_perm:[1,1,1,1] row_mask:0xf bank_mask:0xf// 00000002907C: 0BEB0AFA FF0055FD
	v_mul_f32_dpp v246, v253, v134 quad_perm:[2,2,2,2] row_mask:0xf bank_mask:0xf// 000000029084: 0BED0CFA FF00AAFD
	v_mul_f32_dpp v247, v253, v135 quad_perm:[3,3,3,3] row_mask:0xf bank_mask:0xf// 00000002908C: 0BEF0EFA FF00FFFD
	v_mul_f32_dpp v248, v254, v136 quad_perm:[0,0,0,0] row_mask:0xf bank_mask:0xf// 000000029094: 0BF110FA FF0000FE
	v_mul_f32_dpp v249, v254, v137 quad_perm:[1,1,1,1] row_mask:0xf bank_mask:0xf// 00000002909C: 0BF312FA FF0055FE
	v_mul_f32_dpp v250, v254, v138 quad_perm:[2,2,2,2] row_mask:0xf bank_mask:0xf// 0000000290A4: 0BF514FA FF00AAFE
	v_mul_f32_dpp v251, v254, v139 quad_perm:[3,3,3,3] row_mask:0xf bank_mask:0xf// 0000000290AC: 0BF716FA FF00FFFE
	v_mul_f32_dpp v252, v255, v140 quad_perm:[0,0,0,0] row_mask:0xf bank_mask:0xf// 0000000290B4: 0BF918FA FF0000FF
	v_mul_f32_dpp v253, v255, v141 quad_perm:[1,1,1,1] row_mask:0xf bank_mask:0xf// 0000000290BC: 0BFB1AFA FF0055FF
	v_mul_f32_dpp v254, v255, v142 quad_perm:[2,2,2,2] row_mask:0xf bank_mask:0xf// 0000000290C4: 0BFD1CFA FF00AAFF
	v_mul_f32_dpp v255, v255, v143 quad_perm:[3,3,3,3] row_mask:0xf bank_mask:0xf// 0000000290CC: 0BFF1EFA FF00FFFF
	v_mov_b32_e32 v48, 0x358637bd                              // 0000000290D4: 7E6002FF 358637BD
	v_max3_f32 v48, |v240|, |v241|, v48                        // 0000000290DC: D1D30330 04C3E3F0
	v_max3_f32 v48, |v242|, |v243|, v48                        // 0000000290E4: D1D30330 04C3E7F2
	v_max3_f32 v48, |v244|, |v245|, v48                        // 0000000290EC: D1D30330 04C3EBF4
	v_max3_f32 v48, |v246|, |v247|, v48                        // 0000000290F4: D1D30330 04C3EFF6
	v_max3_f32 v48, |v248|, |v249|, v48                        // 0000000290FC: D1D30330 04C3F3F8
	v_max3_f32 v48, |v250|, |v251|, v48                        // 000000029104: D1D30330 04C3F7FA
	v_max3_f32 v48, |v252|, |v253|, v48                        // 00000002910C: D1D30330 04C3FBFC
	v_max3_f32 v48, |v254|, |v255|, v48                        // 000000029114: D1D30330 04C3FFFE
	ds_write_b32 v8, v48 offset:20992                          // 00000002911C: D81A5200 00003008
	v_sub_f32_e32 v50, v12, v15                                // 000000029124: 04641F0C
	v_cndmask_b32_e64 v50, v50, 0, s[40:41]                    // 000000029128: D1000032 00A10132
	v_mov_b32_e32 v12, v15                                     // 000000029130: 7E18030F
	v_mul_f32_e32 v50, s64, v50                                // 000000029134: 0A646440
	v_exp_f32_e32 v50, v50                                     // 000000029138: 7E644132
	s_waitcnt lgkmcnt(0)                                       // 00000002913C: BF8CC07F
	s_barrier                                                  // 000000029140: BF8A0000
	ds_read_b32 v64, v7 offset:20992                           // 000000029144: D86C5200 40000007
	ds_read_b32 v65, v7 offset:21056                           // 00000002914C: D86C5240 41000007
	ds_read_b32 v66, v7 offset:21120                           // 000000029154: D86C5280 42000007
	ds_read_b32 v67, v7 offset:21184                           // 00000002915C: D86C52C0 43000007
	ds_read_b32 v68, v7 offset:21248                           // 000000029164: D86C5300 44000007
	ds_read_b32 v69, v7 offset:21312                           // 00000002916C: D86C5340 45000007
	ds_read_b32 v70, v7 offset:21376                           // 000000029174: D86C5380 46000007
	ds_read_b32 v71, v7 offset:21440                           // 00000002917C: D86C53C0 47000007
	ds_read_b32 v72, v7 offset:21504                           // 000000029184: D86C5400 48000007
	ds_read_b32 v73, v7 offset:21568                           // 00000002918C: D86C5440 49000007
	ds_read_b32 v74, v7 offset:21632                           // 000000029194: D86C5480 4A000007
	ds_read_b32 v75, v7 offset:21696                           // 00000002919C: D86C54C0 4B000007
	ds_read_b32 v76, v7 offset:21760                           // 0000000291A4: D86C5500 4C000007
	ds_read_b32 v77, v7 offset:21824                           // 0000000291AC: D86C5540 4D000007
	ds_read_b32 v78, v7 offset:21888                           // 0000000291B4: D86C5580 4E000007
	ds_read_b32 v79, v7 offset:21952                           // 0000000291BC: D86C55C0 4F000007
	v_mul_f32_e32 v39, v50, v39                                // 0000000291C4: 0A4E4F32
	v_mov_b32_e32 v15, v128                                    // 0000000291C8: 7E1E0380
	v_add_f32_e32 v15, v129, v15                               // 0000000291CC: 021E1F81
	v_add_f32_e32 v15, v130, v15                               // 0000000291D0: 021E1F82
	v_add_f32_e32 v15, v131, v15                               // 0000000291D4: 021E1F83
	v_add_f32_e32 v15, v132, v15                               // 0000000291D8: 021E1F84
	v_add_f32_e32 v15, v133, v15                               // 0000000291DC: 021E1F85
	v_add_f32_e32 v15, v134, v15                               // 0000000291E0: 021E1F86
	v_add_f32_e32 v15, v135, v15                               // 0000000291E4: 021E1F87
	v_add_f32_e32 v15, v136, v15                               // 0000000291E8: 021E1F88
	v_add_f32_e32 v15, v137, v15                               // 0000000291EC: 021E1F89
	v_add_f32_e32 v15, v138, v15                               // 0000000291F0: 021E1F8A
	v_add_f32_e32 v15, v139, v15                               // 0000000291F4: 021E1F8B
	v_add_f32_e32 v15, v140, v15                               // 0000000291F8: 021E1F8C
	v_add_f32_e32 v15, v141, v15                               // 0000000291FC: 021E1F8D
	v_add_f32_e32 v15, v142, v15                               // 000000029200: 021E1F8E
	v_add_f32_e32 v15, v143, v15                               // 000000029204: 021E1F8F
	v_add_f32_e32 v39, v15, v39                                // 000000029208: 024E4F0F
	s_waitcnt lgkmcnt(0)                                       // 00000002920C: BF8CC07F
	v_max3_f32 v48, |v64|, |v65|, v48                          // 000000029210: D1D30330 04C28340
	v_max3_f32 v48, |v66|, |v67|, v48                          // 000000029218: D1D30330 04C28742
	v_max3_f32 v48, |v68|, |v69|, v48                          // 000000029220: D1D30330 04C28B44
	v_max3_f32 v48, |v70|, |v71|, v48                          // 000000029228: D1D30330 04C28F46
	v_max3_f32 v48, |v72|, |v73|, v48                          // 000000029230: D1D30330 04C29348
	v_max3_f32 v48, |v74|, |v75|, v48                          // 000000029238: D1D30330 04C2974A
	v_max3_f32 v48, |v76|, |v77|, v48                          // 000000029240: D1D30330 04C29B4C
	v_max3_f32 v48, |v78|, |v79|, v48                          // 000000029248: D1D30330 04C29F4E
	s_nop 2                                                    // 000000029250: BF800002
	v_rcp_f32_e32 v48, v48                                     // 000000029254: 7E604530
	s_nop 1                                                    // 000000029258: BF800001
	v_mul_f32_e32 v48, 0x42fe0000, v48                         // 00000002925C: 0A6060FF 42FE0000
	v_mul_f32_e32 v128, v48, v240                              // 000000029264: 0B01E130
	v_mul_f32_e32 v129, v48, v241                              // 000000029268: 0B03E330
	v_mul_f32_e32 v130, v48, v242                              // 00000002926C: 0B05E530
	v_mul_f32_e32 v131, v48, v243                              // 000000029270: 0B07E730
	v_mul_f32_e32 v132, v48, v244                              // 000000029274: 0B09E930
	v_mul_f32_e32 v133, v48, v245                              // 000000029278: 0B0BEB30
	v_mul_f32_e32 v134, v48, v246                              // 00000002927C: 0B0DED30
	v_mul_f32_e32 v135, v48, v247                              // 000000029280: 0B0FEF30
	v_mul_f32_e32 v136, v48, v248                              // 000000029284: 0B11F130
	v_mul_f32_e32 v137, v48, v249                              // 000000029288: 0B13F330
	v_mul_f32_e32 v138, v48, v250                              // 00000002928C: 0B15F530
	v_mul_f32_e32 v139, v48, v251                              // 000000029290: 0B17F730
	v_mul_f32_e32 v140, v48, v252                              // 000000029294: 0B19F930
	v_mul_f32_e32 v141, v48, v253                              // 000000029298: 0B1BFB30
	v_mul_f32_e32 v142, v48, v254                              // 00000002929C: 0B1DFD30
	v_mul_f32_e32 v143, v48, v255                              // 0000000292A0: 0B1FFF30
	v_cvt_i32_f32_e32 v128, v128                               // 0000000292A4: 7F001180
	v_cvt_i32_f32_e32 v129, v129                               // 0000000292A8: 7F021181
	v_cvt_i32_f32_e32 v130, v130                               // 0000000292AC: 7F041182
	v_cvt_i32_f32_e32 v131, v131                               // 0000000292B0: 7F061183
	v_cvt_i32_f32_e32 v132, v132                               // 0000000292B4: 7F081184
	v_cvt_i32_f32_e32 v133, v133                               // 0000000292B8: 7F0A1185
	v_cvt_i32_f32_e32 v134, v134                               // 0000000292BC: 7F0C1186
	v_cvt_i32_f32_e32 v135, v135                               // 0000000292C0: 7F0E1187
	v_cvt_i32_f32_e32 v136, v136                               // 0000000292C4: 7F101188
	v_cvt_i32_f32_e32 v137, v137                               // 0000000292C8: 7F121189
	v_cvt_i32_f32_e32 v138, v138                               // 0000000292CC: 7F14118A
	v_cvt_i32_f32_e32 v139, v139                               // 0000000292D0: 7F16118B
	v_cvt_i32_f32_e32 v140, v140                               // 0000000292D4: 7F18118C
	v_cvt_i32_f32_e32 v141, v141                               // 0000000292D8: 7F1A118D
	v_cvt_i32_f32_e32 v142, v142                               // 0000000292DC: 7F1C118E
	v_cvt_i32_f32_e32 v143, v143                               // 0000000292E0: 7F1E118F
	v_perm_b32 v128, v129, v128, s53                           // 0000000292E4: D1ED0080 00D70181
	v_perm_b32 v128, v130, v128, s54                           // 0000000292EC: D1ED0080 00DB0182
	v_perm_b32 v128, v131, v128, s55                           // 0000000292F4: D1ED0080 00DF0183
	v_perm_b32 v129, v133, v132, s53                           // 0000000292FC: D1ED0081 00D70985
	v_perm_b32 v129, v134, v129, s54                           // 000000029304: D1ED0081 00DB0386
	v_perm_b32 v129, v135, v129, s55                           // 00000002930C: D1ED0081 00DF0387
	v_perm_b32 v130, v137, v136, s53                           // 000000029314: D1ED0082 00D71189
	v_perm_b32 v130, v138, v130, s54                           // 00000002931C: D1ED0082 00DB058A
	v_perm_b32 v130, v139, v130, s55                           // 000000029324: D1ED0082 00DF058B
	v_perm_b32 v131, v141, v140, s53                           // 00000002932C: D1ED0083 00D7198D
	v_perm_b32 v131, v142, v131, s54                           // 000000029334: D1ED0083 00DB078E
	v_perm_b32 v131, v143, v131, s55                           // 00000002933C: D1ED0083 00DF078F
	ds_write_b32 v10, v128 offset:29184                        // 000000029344: D81A7200 0000800A
	ds_write_b32 v10, v129 offset:30208                        // 00000002934C: D81A7600 0000810A
	ds_write_b32 v10, v130 offset:31232                        // 000000029354: D81A7A00 0000820A
	ds_write_b32 v10, v131 offset:32256                        // 00000002935C: D81A7E00 0000830A
	v_add_f32_e32 v216, v216, v184                             // 000000029364: 03B171D8
	v_add_f32_e32 v217, v217, v185                             // 000000029368: 03B373D9
	v_add_f32_e32 v218, v218, v186                             // 00000002936C: 03B575DA
	v_add_f32_e32 v219, v219, v187                             // 000000029370: 03B777DB
	v_add_f32_e32 v220, v220, v188                             // 000000029374: 03B979DC
	v_add_f32_e32 v221, v221, v189                             // 000000029378: 03BB7BDD
	v_add_f32_e32 v222, v222, v190                             // 00000002937C: 03BD7DDE
	v_add_f32_e32 v223, v223, v191                             // 000000029380: 03BF7FDF
	v_rcp_f32_e32 v45, v48                                     // 000000029384: 7E5A4530
	s_waitcnt lgkmcnt(0)                                       // 000000029388: BF8CC07F
	s_barrier                                                  // 00000002938C: BF8A0000
	ds_read_b64 v[128:129], v9 offset:29184                    // 000000029390: D8EC7200 80000009
	ds_read_b64 v[130:131], v9 offset:29312                    // 000000029398: D8EC7280 82000009
	ds_read_b64 v[132:133], v9 offset:30208                    // 0000000293A0: D8EC7600 84000009
	ds_read_b64 v[134:135], v9 offset:30336                    // 0000000293A8: D8EC7680 86000009
	ds_read_b64 v[136:137], v9 offset:31232                    // 0000000293B0: D8EC7A00 88000009
	ds_read_b64 v[138:139], v9 offset:31360                    // 0000000293B8: D8EC7A80 8A000009
	ds_read_b64 v[140:141], v9 offset:32256                    // 0000000293C0: D8EC7E00 8C000009
	ds_read_b64 v[142:143], v9 offset:32384                    // 0000000293C8: D8EC7E80 8E000009
	v_mov_b32_dpp v64, v43 row_shr:4 row_mask:0xf bank_mask:0xf// 0000000293D0: 7E8002FA FF01142B
	v_mov_b32_dpp v65, v43 row_shl:4 row_mask:0xf bank_mask:0xf// 0000000293D8: 7E8202FA FF01042B
	v_cndmask_b32_e64 v248, v43, v64, s[44:45]                 // 0000000293E0: D10000F8 00B2812B
	v_cndmask_b32_e64 v249, v65, v43, s[44:45]                 // 0000000293E8: D10000F9 00B25741
	v_mov_b32_dpp v64, v248 row_shr:8 row_mask:0xf bank_mask:0xf// 0000000293F0: 7E8002FA FF0118F8
	v_mov_b32_dpp v65, v248 row_shl:8 row_mask:0xf bank_mask:0xf// 0000000293F8: 7E8202FA FF0108F8
	v_mov_b32_dpp v66, v249 row_shr:8 row_mask:0xf bank_mask:0xf// 000000029400: 7E8402FA FF0118F9
	v_mov_b32_dpp v67, v249 row_shl:8 row_mask:0xf bank_mask:0xf// 000000029408: 7E8602FA FF0108F9
	v_mov_b32_e32 v68, v248                                    // 000000029410: 7E8803F8
	v_mov_b32_e32 v69, v249                                    // 000000029414: 7E8A03F9
	v_cndmask_b32_e64 v248, v68, v64, s[42:43]                 // 000000029418: D10000F8 00AA8144
	v_cndmask_b32_e64 v250, v68, v65, s[78:79]                 // 000000029420: D10000FA 013A8344
	v_cndmask_b32_e64 v249, v69, v66, s[42:43]                 // 000000029428: D10000F9 00AA8545
	v_cndmask_b32_e64 v251, v69, v67, s[78:79]                 // 000000029430: D10000FB 013A8745
	v_mov_b32_dpp v64, v58 row_shr:4 row_mask:0xf bank_mask:0xf// 000000029438: 7E8002FA FF01143A
	v_mov_b32_dpp v65, v58 row_shl:4 row_mask:0xf bank_mask:0xf// 000000029440: 7E8202FA FF01043A
	v_cndmask_b32_e64 v252, v58, v64, s[44:45]                 // 000000029448: D10000FC 00B2813A
	v_cndmask_b32_e64 v253, v65, v58, s[44:45]                 // 000000029450: D10000FD 00B27541
	v_mov_b32_dpp v64, v252 row_shr:8 row_mask:0xf bank_mask:0xf// 000000029458: 7E8002FA FF0118FC
	v_mov_b32_dpp v65, v252 row_shl:8 row_mask:0xf bank_mask:0xf// 000000029460: 7E8202FA FF0108FC
	v_mov_b32_dpp v66, v253 row_shr:8 row_mask:0xf bank_mask:0xf// 000000029468: 7E8402FA FF0118FD
	v_mov_b32_dpp v67, v253 row_shl:8 row_mask:0xf bank_mask:0xf// 000000029470: 7E8602FA FF0108FD
	v_mov_b32_e32 v68, v252                                    // 000000029478: 7E8803FC
	v_mov_b32_e32 v69, v253                                    // 00000002947C: 7E8A03FD
	v_cndmask_b32_e64 v252, v68, v64, s[42:43]                 // 000000029480: D10000FC 00AA8144
	v_cndmask_b32_e64 v254, v68, v65, s[78:79]                 // 000000029488: D10000FE 013A8344
	v_cndmask_b32_e64 v253, v69, v66, s[42:43]                 // 000000029490: D10000FD 00AA8545
	v_cndmask_b32_e64 v255, v69, v67, s[78:79]                 // 000000029498: D10000FF 013A8745
	v_cvt_f32_i32_e32 v144, v144                               // 0000000294A0: 7F200B90
	v_cvt_f32_i32_e32 v145, v145                               // 0000000294A4: 7F220B91
	v_cvt_f32_i32_e32 v146, v146                               // 0000000294A8: 7F240B92
	v_cvt_f32_i32_e32 v147, v147                               // 0000000294AC: 7F260B93
	v_cvt_f32_i32_e32 v148, v148                               // 0000000294B0: 7F280B94
	v_cvt_f32_i32_e32 v149, v149                               // 0000000294B4: 7F2A0B95
	v_cvt_f32_i32_e32 v150, v150                               // 0000000294B8: 7F2C0B96
	v_cvt_f32_i32_e32 v151, v151                               // 0000000294BC: 7F2E0B97
	v_cvt_f32_i32_e32 v152, v152                               // 0000000294C0: 7F300B98
	v_cvt_f32_i32_e32 v153, v153                               // 0000000294C4: 7F320B99
	v_cvt_f32_i32_e32 v154, v154                               // 0000000294C8: 7F340B9A
	v_cvt_f32_i32_e32 v155, v155                               // 0000000294CC: 7F360B9B
	v_cvt_f32_i32_e32 v156, v156                               // 0000000294D0: 7F380B9C
	v_cvt_f32_i32_e32 v157, v157                               // 0000000294D4: 7F3A0B9D
	v_cvt_f32_i32_e32 v158, v158                               // 0000000294D8: 7F3C0B9E
	v_cvt_f32_i32_e32 v159, v159                               // 0000000294DC: 7F3E0B9F
	v_mul_f32_e32 v144, v20, v144                              // 0000000294E0: 0B212114
	v_mul_f32_e32 v145, v20, v145                              // 0000000294E4: 0B232314
	v_mul_f32_e32 v146, v20, v146                              // 0000000294E8: 0B252514
	v_mul_f32_e32 v147, v20, v147                              // 0000000294EC: 0B272714
	v_mul_f32_e32 v148, v20, v148                              // 0000000294F0: 0B292914
	v_mul_f32_e32 v149, v20, v149                              // 0000000294F4: 0B2B2B14
	v_mul_f32_e32 v150, v20, v150                              // 0000000294F8: 0B2D2D14
	v_mul_f32_e32 v151, v20, v151                              // 0000000294FC: 0B2F2F14
	v_mul_f32_e32 v152, v20, v152                              // 000000029500: 0B313114
	v_mul_f32_e32 v153, v20, v153                              // 000000029504: 0B333314
	v_mul_f32_e32 v154, v20, v154                              // 000000029508: 0B353514
	v_mul_f32_e32 v155, v20, v155                              // 00000002950C: 0B373714
	v_mul_f32_e32 v156, v20, v156                              // 000000029510: 0B393914
	v_mul_f32_e32 v157, v20, v157                              // 000000029514: 0B3B3B14
	v_mul_f32_e32 v158, v20, v158                              // 000000029518: 0B3D3D14
	v_mul_f32_e32 v159, v20, v159                              // 00000002951C: 0B3F3F14
	v_mul_f32_dpp v144, v248, v144 quad_perm:[0,0,0,0] row_mask:0xf bank_mask:0xf// 000000029520: 0B2120FA FF0000F8
	v_mul_f32_dpp v145, v248, v145 quad_perm:[1,1,1,1] row_mask:0xf bank_mask:0xf// 000000029528: 0B2322FA FF0055F8
	v_mul_f32_dpp v146, v248, v146 quad_perm:[2,2,2,2] row_mask:0xf bank_mask:0xf// 000000029530: 0B2524FA FF00AAF8
	v_mul_f32_dpp v147, v248, v147 quad_perm:[3,3,3,3] row_mask:0xf bank_mask:0xf// 000000029538: 0B2726FA FF00FFF8
	v_mul_f32_dpp v148, v249, v148 quad_perm:[0,0,0,0] row_mask:0xf bank_mask:0xf// 000000029540: 0B2928FA FF0000F9
	v_mul_f32_dpp v149, v249, v149 quad_perm:[1,1,1,1] row_mask:0xf bank_mask:0xf// 000000029548: 0B2B2AFA FF0055F9
	v_mul_f32_dpp v150, v249, v150 quad_perm:[2,2,2,2] row_mask:0xf bank_mask:0xf// 000000029550: 0B2D2CFA FF00AAF9
	v_mul_f32_dpp v151, v249, v151 quad_perm:[3,3,3,3] row_mask:0xf bank_mask:0xf// 000000029558: 0B2F2EFA FF00FFF9
	v_mul_f32_dpp v152, v250, v152 quad_perm:[0,0,0,0] row_mask:0xf bank_mask:0xf// 000000029560: 0B3130FA FF0000FA
	v_mul_f32_dpp v153, v250, v153 quad_perm:[1,1,1,1] row_mask:0xf bank_mask:0xf// 000000029568: 0B3332FA FF0055FA
	v_mul_f32_dpp v154, v250, v154 quad_perm:[2,2,2,2] row_mask:0xf bank_mask:0xf// 000000029570: 0B3534FA FF00AAFA
	v_mul_f32_dpp v155, v250, v155 quad_perm:[3,3,3,3] row_mask:0xf bank_mask:0xf// 000000029578: 0B3736FA FF00FFFA
	v_mul_f32_dpp v156, v251, v156 quad_perm:[0,0,0,0] row_mask:0xf bank_mask:0xf// 000000029580: 0B3938FA FF0000FB
	v_mul_f32_dpp v157, v251, v157 quad_perm:[1,1,1,1] row_mask:0xf bank_mask:0xf// 000000029588: 0B3B3AFA FF0055FB
	v_mul_f32_dpp v158, v251, v158 quad_perm:[2,2,2,2] row_mask:0xf bank_mask:0xf// 000000029590: 0B3D3CFA FF00AAFB
	v_mul_f32_dpp v159, v251, v159 quad_perm:[3,3,3,3] row_mask:0xf bank_mask:0xf// 000000029598: 0B3F3EFA FF00FFFB
	s_cmp_le_i32 s90, s89                                      // 0000000295A0: BF05595A
	s_cbranch_scc1 label_9D5B                                  // 0000000295A4: BF850071
	v_mov_b32_e32 v66, 0xff800000                              // 0000000295A8: 7E8402FF FF800000
	s_mov_b32 s60, s90                                         // 0000000295B0: BEBC005A
	s_add_u32 s61, s89, 0xff                                   // 0000000295B4: 803DFF59 000000FF
	v_mov_b32_e32 v64, s61                                     // 0000000295BC: 7E80023D
	v_lshrrev_b32_e32 v240, 4, v0                              // 0000000295C0: 21E00084
	v_mul_i32_i24_e32 v240, 4, v240                            // 0000000295C4: 0DE1E084
	v_add_u32_e32 v240, s60, v240                              // 0000000295C8: 69E1E03C
	s_mov_b32 s61, 2                                           // 0000000295CC: BEBD0082
	s_mul_i32 s60, 16, s7                                      // 0000000295D0: 923C0790
	v_sub_u32_e64 v240, v240, s61                              // 0000000295D4: D13500F0 00007BF0
	v_add_u32_e32 v240, s60, v240                              // 0000000295DC: 69E1E03C
	v_add_u32_e32 v241, 1, v240                                // 0000000295E0: 69E3E081
	v_add_u32_e32 v242, 2, v240                                // 0000000295E4: 69E5E082
	v_add_u32_e32 v243, 3, v240                                // 0000000295E8: 69E7E083
	v_cmp_le_u32_e64 s[40:41], v240, v64                       // 0000000295EC: D0CB0028 000281F0
	v_add_u32_e32 v240, 64, v240                               // 0000000295F4: 69E1E0C0
	s_nop 0                                                    // 0000000295F8: BF800000
	v_cndmask_b32_e64 v144, v66, v144, s[40:41]                // 0000000295FC: D1000090 00A32142
	v_cmp_le_u32_e64 s[40:41], v241, v64                       // 000000029604: D0CB0028 000281F1
	v_add_u32_e32 v241, 64, v241                               // 00000002960C: 69E3E2C0
	s_nop 0                                                    // 000000029610: BF800000
	v_cndmask_b32_e64 v145, v66, v145, s[40:41]                // 000000029614: D1000091 00A32342
	v_cmp_le_u32_e64 s[40:41], v242, v64                       // 00000002961C: D0CB0028 000281F2
	v_add_u32_e32 v242, 64, v242                               // 000000029624: 69E5E4C0
	s_nop 0                                                    // 000000029628: BF800000
	v_cndmask_b32_e64 v146, v66, v146, s[40:41]                // 00000002962C: D1000092 00A32542
	v_cmp_le_u32_e64 s[40:41], v243, v64                       // 000000029634: D0CB0028 000281F3
	v_add_u32_e32 v243, 64, v243                               // 00000002963C: 69E7E6C0
	s_nop 0                                                    // 000000029640: BF800000
	v_cndmask_b32_e64 v147, v66, v147, s[40:41]                // 000000029644: D1000093 00A32742
	v_cmp_le_u32_e64 s[40:41], v240, v64                       // 00000002964C: D0CB0028 000281F0
	v_add_u32_e32 v240, 64, v240                               // 000000029654: 69E1E0C0
	s_nop 0                                                    // 000000029658: BF800000
	v_cndmask_b32_e64 v148, v66, v148, s[40:41]                // 00000002965C: D1000094 00A32942
	v_cmp_le_u32_e64 s[40:41], v241, v64                       // 000000029664: D0CB0028 000281F1
	v_add_u32_e32 v241, 64, v241                               // 00000002966C: 69E3E2C0
	s_nop 0                                                    // 000000029670: BF800000
	v_cndmask_b32_e64 v149, v66, v149, s[40:41]                // 000000029674: D1000095 00A32B42
	v_cmp_le_u32_e64 s[40:41], v242, v64                       // 00000002967C: D0CB0028 000281F2
	v_add_u32_e32 v242, 64, v242                               // 000000029684: 69E5E4C0
	s_nop 0                                                    // 000000029688: BF800000
	v_cndmask_b32_e64 v150, v66, v150, s[40:41]                // 00000002968C: D1000096 00A32D42
	v_cmp_le_u32_e64 s[40:41], v243, v64                       // 000000029694: D0CB0028 000281F3
	v_add_u32_e32 v243, 64, v243                               // 00000002969C: 69E7E6C0
	s_nop 0                                                    // 0000000296A0: BF800000
	v_cndmask_b32_e64 v151, v66, v151, s[40:41]                // 0000000296A4: D1000097 00A32F42
	v_cmp_le_u32_e64 s[40:41], v240, v64                       // 0000000296AC: D0CB0028 000281F0
	v_add_u32_e32 v240, 64, v240                               // 0000000296B4: 69E1E0C0
	s_nop 0                                                    // 0000000296B8: BF800000
	v_cndmask_b32_e64 v152, v66, v152, s[40:41]                // 0000000296BC: D1000098 00A33142
	v_cmp_le_u32_e64 s[40:41], v241, v64                       // 0000000296C4: D0CB0028 000281F1
	v_add_u32_e32 v241, 64, v241                               // 0000000296CC: 69E3E2C0
	s_nop 0                                                    // 0000000296D0: BF800000
	v_cndmask_b32_e64 v153, v66, v153, s[40:41]                // 0000000296D4: D1000099 00A33342
	v_cmp_le_u32_e64 s[40:41], v242, v64                       // 0000000296DC: D0CB0028 000281F2
	v_add_u32_e32 v242, 64, v242                               // 0000000296E4: 69E5E4C0
	s_nop 0                                                    // 0000000296E8: BF800000
	v_cndmask_b32_e64 v154, v66, v154, s[40:41]                // 0000000296EC: D100009A 00A33542
	v_cmp_le_u32_e64 s[40:41], v243, v64                       // 0000000296F4: D0CB0028 000281F3
	v_add_u32_e32 v243, 64, v243                               // 0000000296FC: 69E7E6C0
	s_nop 0                                                    // 000000029700: BF800000
	v_cndmask_b32_e64 v155, v66, v155, s[40:41]                // 000000029704: D100009B 00A33742
	v_cmp_le_u32_e64 s[40:41], v240, v64                       // 00000002970C: D0CB0028 000281F0
	v_add_u32_e32 v240, 64, v240                               // 000000029714: 69E1E0C0
	s_nop 0                                                    // 000000029718: BF800000
	v_cndmask_b32_e64 v156, v66, v156, s[40:41]                // 00000002971C: D100009C 00A33942
	v_cmp_le_u32_e64 s[40:41], v241, v64                       // 000000029724: D0CB0028 000281F1
	v_add_u32_e32 v241, 64, v241                               // 00000002972C: 69E3E2C0
	s_nop 0                                                    // 000000029730: BF800000
	v_cndmask_b32_e64 v157, v66, v157, s[40:41]                // 000000029734: D100009D 00A33B42
	v_cmp_le_u32_e64 s[40:41], v242, v64                       // 00000002973C: D0CB0028 000281F2
	v_add_u32_e32 v242, 64, v242                               // 000000029744: 69E5E4C0
	s_nop 0                                                    // 000000029748: BF800000
	v_cndmask_b32_e64 v158, v66, v158, s[40:41]                // 00000002974C: D100009E 00A33D42
	v_cmp_le_u32_e64 s[40:41], v243, v64                       // 000000029754: D0CB0028 000281F3
	v_add_u32_e32 v243, 64, v243                               // 00000002975C: 69E7E6C0
	s_nop 0                                                    // 000000029760: BF800000
	v_cndmask_b32_e64 v159, v66, v159, s[40:41]                // 000000029764: D100009F 00A33F42

000000000002976c <label_9D5B>:
	v_mov_b32_e32 v48, v144                                    // 00000002976C: 7E600390
	v_max3_f32 v48, v144, v145, v48                            // 000000029770: D1D30030 04C32390
	v_max3_f32 v48, v146, v147, v48                            // 000000029778: D1D30030 04C32792
	v_max3_f32 v48, v148, v149, v48                            // 000000029780: D1D30030 04C32B94
	v_max3_f32 v48, v150, v151, v48                            // 000000029788: D1D30030 04C32F96
	v_max3_f32 v48, v152, v153, v48                            // 000000029790: D1D30030 04C33398
	v_max3_f32 v48, v154, v155, v48                            // 000000029798: D1D30030 04C3379A
	v_max3_f32 v48, v156, v157, v48                            // 0000000297A0: D1D30030 04C33B9C
	v_max3_f32 v48, v158, v159, v48                            // 0000000297A8: D1D30030 04C33F9E
	ds_write_b32 v8, v48 offset:16896                          // 0000000297B0: D81A4200 00003008
	v_mul_f32_e32 v224, v51, v224                              // 0000000297B8: 0BC1C133
	v_mul_f32_e32 v225, v51, v225                              // 0000000297BC: 0BC3C333
	v_mul_f32_e32 v226, v51, v226                              // 0000000297C0: 0BC5C533
	v_mul_f32_e32 v227, v51, v227                              // 0000000297C4: 0BC7C733
	v_mul_f32_e32 v228, v51, v228                              // 0000000297C8: 0BC9C933
	v_mul_f32_e32 v229, v51, v229                              // 0000000297CC: 0BCBCB33
	v_mul_f32_e32 v230, v51, v230                              // 0000000297D0: 0BCDCD33
	v_mul_f32_e32 v231, v51, v231                              // 0000000297D4: 0BCFCF33
	s_waitcnt lgkmcnt(0)                                       // 0000000297D8: BF8CC07F
	s_barrier                                                  // 0000000297DC: BF8A0000
	ds_read_b32 v64, v7 offset:16896                           // 0000000297E0: D86C4200 40000007
	ds_read_b32 v65, v7 offset:16960                           // 0000000297E8: D86C4240 41000007
	ds_read_b32 v66, v7 offset:17024                           // 0000000297F0: D86C4280 42000007
	ds_read_b32 v67, v7 offset:17088                           // 0000000297F8: D86C42C0 43000007
	ds_read_b32 v68, v7 offset:17152                           // 000000029800: D86C4300 44000007
	ds_read_b32 v69, v7 offset:17216                           // 000000029808: D86C4340 45000007
	ds_read_b32 v70, v7 offset:17280                           // 000000029810: D86C4380 46000007
	ds_read_b32 v71, v7 offset:17344                           // 000000029818: D86C43C0 47000007
	ds_read_b32 v72, v7 offset:17408                           // 000000029820: D86C4400 48000007
	ds_read_b32 v73, v7 offset:17472                           // 000000029828: D86C4440 49000007
	ds_read_b32 v74, v7 offset:17536                           // 000000029830: D86C4480 4A000007
	ds_read_b32 v75, v7 offset:17600                           // 000000029838: D86C44C0 4B000007
	ds_read_b32 v76, v7 offset:17664                           // 000000029840: D86C4500 4C000007
	ds_read_b32 v77, v7 offset:17728                           // 000000029848: D86C4540 4D000007
	ds_read_b32 v78, v7 offset:17792                           // 000000029850: D86C4580 4E000007
	ds_read_b32 v79, v7 offset:17856                           // 000000029858: D86C45C0 4F000007
	v_cvt_f32_i32_e32 v192, v192                               // 000000029860: 7F800BC0
	v_cvt_f32_i32_e32 v193, v193                               // 000000029864: 7F820BC1
	v_cvt_f32_i32_e32 v194, v194                               // 000000029868: 7F840BC2
	v_cvt_f32_i32_e32 v195, v195                               // 00000002986C: 7F860BC3
	v_cvt_f32_i32_e32 v196, v196                               // 000000029870: 7F880BC4
	v_cvt_f32_i32_e32 v197, v197                               // 000000029874: 7F8A0BC5
	v_cvt_f32_i32_e32 v198, v198                               // 000000029878: 7F8C0BC6
	v_cvt_f32_i32_e32 v199, v199                               // 00000002987C: 7F8E0BC7
	v_mul_f32_e32 v192, v46, v192                              // 000000029880: 0B81812E
	v_mul_f32_e32 v193, v46, v193                              // 000000029884: 0B83832E
	v_mul_f32_e32 v194, v46, v194                              // 000000029888: 0B85852E
	v_mul_f32_e32 v195, v46, v195                              // 00000002988C: 0B87872E
	v_mul_f32_e32 v196, v46, v196                              // 000000029890: 0B89892E
	v_mul_f32_e32 v197, v46, v197                              // 000000029894: 0B8B8B2E
	v_mul_f32_e32 v198, v46, v198                              // 000000029898: 0B8D8D2E
	v_mul_f32_e32 v199, v46, v199                              // 00000002989C: 0B8F8F2E
	s_waitcnt lgkmcnt(0)                                       // 0000000298A0: BF8CC07F
	v_max3_f32 v48, v64, v65, v48                              // 0000000298A4: D1D30030 04C28340
	v_max3_f32 v48, v66, v67, v48                              // 0000000298AC: D1D30030 04C28742
	v_max3_f32 v48, v68, v69, v48                              // 0000000298B4: D1D30030 04C28B44
	v_max3_f32 v48, v70, v71, v48                              // 0000000298BC: D1D30030 04C28F46
	v_max3_f32 v48, v72, v73, v48                              // 0000000298C4: D1D30030 04C29348
	v_max3_f32 v48, v74, v75, v48                              // 0000000298CC: D1D30030 04C2974A
	v_max3_f32 v48, v76, v77, v48                              // 0000000298D4: D1D30030 04C29B4C
	v_max3_f32 v48, v78, v79, v48                              // 0000000298DC: D1D30030 04C29F4E
	v_mov_b32_e32 v64, 0xff800000                              // 0000000298E4: 7E8002FF FF800000
	v_cmp_eq_u32_e64 s[40:41], v64, v13                        // 0000000298EC: D0CA0028 00021B40
	s_nop 1                                                    // 0000000298F4: BF800001
	v_max_f32_e32 v15, v48, v13                                // 0000000298F8: 161E1B30
	v_mul_f32_e32 v53, s64, v15                                // 0000000298FC: 0A6A1E40
	v_fma_f32 v144, v144, s64, -v53                            // 000000029900: D1CB0090 84D48190
	v_fma_f32 v145, v145, s64, -v53                            // 000000029908: D1CB0091 84D48191
	v_fma_f32 v146, v146, s64, -v53                            // 000000029910: D1CB0092 84D48192
	v_fma_f32 v147, v147, s64, -v53                            // 000000029918: D1CB0093 84D48193
	v_fma_f32 v148, v148, s64, -v53                            // 000000029920: D1CB0094 84D48194
	v_fma_f32 v149, v149, s64, -v53                            // 000000029928: D1CB0095 84D48195
	v_fma_f32 v150, v150, s64, -v53                            // 000000029930: D1CB0096 84D48196
	v_fma_f32 v151, v151, s64, -v53                            // 000000029938: D1CB0097 84D48197
	v_fma_f32 v152, v152, s64, -v53                            // 000000029940: D1CB0098 84D48198
	v_fma_f32 v153, v153, s64, -v53                            // 000000029948: D1CB0099 84D48199
	v_fma_f32 v154, v154, s64, -v53                            // 000000029950: D1CB009A 84D4819A
	v_fma_f32 v155, v155, s64, -v53                            // 000000029958: D1CB009B 84D4819B
	v_fma_f32 v156, v156, s64, -v53                            // 000000029960: D1CB009C 84D4819C
	v_fma_f32 v157, v157, s64, -v53                            // 000000029968: D1CB009D 84D4819D
	v_fma_f32 v158, v158, s64, -v53                            // 000000029970: D1CB009E 84D4819E
	v_fma_f32 v159, v159, s64, -v53                            // 000000029978: D1CB009F 84D4819F
	v_exp_f32_e32 v144, v144                                   // 000000029980: 7F204190
	v_exp_f32_e32 v145, v145                                   // 000000029984: 7F224191
	v_exp_f32_e32 v146, v146                                   // 000000029988: 7F244192
	v_exp_f32_e32 v147, v147                                   // 00000002998C: 7F264193
	v_exp_f32_e32 v148, v148                                   // 000000029990: 7F284194
	v_exp_f32_e32 v149, v149                                   // 000000029994: 7F2A4195
	v_exp_f32_e32 v150, v150                                   // 000000029998: 7F2C4196
	v_exp_f32_e32 v151, v151                                   // 00000002999C: 7F2E4197
	v_exp_f32_e32 v152, v152                                   // 0000000299A0: 7F304198
	v_exp_f32_e32 v153, v153                                   // 0000000299A4: 7F324199
	v_exp_f32_e32 v154, v154                                   // 0000000299A8: 7F34419A
	v_exp_f32_e32 v155, v155                                   // 0000000299AC: 7F36419B
	v_exp_f32_e32 v156, v156                                   // 0000000299B0: 7F38419C
	v_exp_f32_e32 v157, v157                                   // 0000000299B4: 7F3A419D
	v_exp_f32_e32 v158, v158                                   // 0000000299B8: 7F3C419E
	v_exp_f32_e32 v159, v159                                   // 0000000299BC: 7F3E419F
	v_mul_f32_dpp v240, v252, v144 quad_perm:[0,0,0,0] row_mask:0xf bank_mask:0xf// 0000000299C0: 0BE120FA FF0000FC
	v_mul_f32_dpp v241, v252, v145 quad_perm:[1,1,1,1] row_mask:0xf bank_mask:0xf// 0000000299C8: 0BE322FA FF0055FC
	v_mul_f32_dpp v242, v252, v146 quad_perm:[2,2,2,2] row_mask:0xf bank_mask:0xf// 0000000299D0: 0BE524FA FF00AAFC
	v_mul_f32_dpp v243, v252, v147 quad_perm:[3,3,3,3] row_mask:0xf bank_mask:0xf// 0000000299D8: 0BE726FA FF00FFFC
	v_mul_f32_dpp v244, v253, v148 quad_perm:[0,0,0,0] row_mask:0xf bank_mask:0xf// 0000000299E0: 0BE928FA FF0000FD
	v_mul_f32_dpp v245, v253, v149 quad_perm:[1,1,1,1] row_mask:0xf bank_mask:0xf// 0000000299E8: 0BEB2AFA FF0055FD
	v_mul_f32_dpp v246, v253, v150 quad_perm:[2,2,2,2] row_mask:0xf bank_mask:0xf// 0000000299F0: 0BED2CFA FF00AAFD
	v_mul_f32_dpp v247, v253, v151 quad_perm:[3,3,3,3] row_mask:0xf bank_mask:0xf// 0000000299F8: 0BEF2EFA FF00FFFD
	v_mul_f32_dpp v248, v254, v152 quad_perm:[0,0,0,0] row_mask:0xf bank_mask:0xf// 000000029A00: 0BF130FA FF0000FE
	v_mul_f32_dpp v249, v254, v153 quad_perm:[1,1,1,1] row_mask:0xf bank_mask:0xf// 000000029A08: 0BF332FA FF0055FE
	v_mul_f32_dpp v250, v254, v154 quad_perm:[2,2,2,2] row_mask:0xf bank_mask:0xf// 000000029A10: 0BF534FA FF00AAFE
	v_mul_f32_dpp v251, v254, v155 quad_perm:[3,3,3,3] row_mask:0xf bank_mask:0xf// 000000029A18: 0BF736FA FF00FFFE
	v_mul_f32_dpp v252, v255, v156 quad_perm:[0,0,0,0] row_mask:0xf bank_mask:0xf// 000000029A20: 0BF938FA FF0000FF
	v_mul_f32_dpp v253, v255, v157 quad_perm:[1,1,1,1] row_mask:0xf bank_mask:0xf// 000000029A28: 0BFB3AFA FF0055FF
	v_mul_f32_dpp v254, v255, v158 quad_perm:[2,2,2,2] row_mask:0xf bank_mask:0xf// 000000029A30: 0BFD3CFA FF00AAFF
	v_mul_f32_dpp v255, v255, v159 quad_perm:[3,3,3,3] row_mask:0xf bank_mask:0xf// 000000029A38: 0BFF3EFA FF00FFFF
	v_mov_b32_e32 v48, 0x358637bd                              // 000000029A40: 7E6002FF 358637BD
	v_max3_f32 v48, |v240|, |v241|, v48                        // 000000029A48: D1D30330 04C3E3F0
	v_max3_f32 v48, |v242|, |v243|, v48                        // 000000029A50: D1D30330 04C3E7F2
	v_max3_f32 v48, |v244|, |v245|, v48                        // 000000029A58: D1D30330 04C3EBF4
	v_max3_f32 v48, |v246|, |v247|, v48                        // 000000029A60: D1D30330 04C3EFF6
	v_max3_f32 v48, |v248|, |v249|, v48                        // 000000029A68: D1D30330 04C3F3F8
	v_max3_f32 v48, |v250|, |v251|, v48                        // 000000029A70: D1D30330 04C3F7FA
	v_max3_f32 v48, |v252|, |v253|, v48                        // 000000029A78: D1D30330 04C3FBFC
	v_max3_f32 v48, |v254|, |v255|, v48                        // 000000029A80: D1D30330 04C3FFFE
	ds_write_b32 v8, v48 offset:20992                          // 000000029A88: D81A5200 00003008
	v_sub_f32_e32 v51, v13, v15                                // 000000029A90: 04661F0D
	v_cndmask_b32_e64 v51, v51, 0, s[40:41]                    // 000000029A94: D1000033 00A10133
	v_mov_b32_e32 v13, v15                                     // 000000029A9C: 7E1A030F
	v_mul_f32_e32 v51, s64, v51                                // 000000029AA0: 0A666640
	v_exp_f32_e32 v51, v51                                     // 000000029AA4: 7E664133
	s_waitcnt lgkmcnt(0)                                       // 000000029AA8: BF8CC07F
	s_barrier                                                  // 000000029AAC: BF8A0000
	ds_read_b32 v64, v7 offset:20992                           // 000000029AB0: D86C5200 40000007
	ds_read_b32 v65, v7 offset:21056                           // 000000029AB8: D86C5240 41000007
	ds_read_b32 v66, v7 offset:21120                           // 000000029AC0: D86C5280 42000007
	ds_read_b32 v67, v7 offset:21184                           // 000000029AC8: D86C52C0 43000007
	ds_read_b32 v68, v7 offset:21248                           // 000000029AD0: D86C5300 44000007
	ds_read_b32 v69, v7 offset:21312                           // 000000029AD8: D86C5340 45000007
	ds_read_b32 v70, v7 offset:21376                           // 000000029AE0: D86C5380 46000007
	ds_read_b32 v71, v7 offset:21440                           // 000000029AE8: D86C53C0 47000007
	ds_read_b32 v72, v7 offset:21504                           // 000000029AF0: D86C5400 48000007
	ds_read_b32 v73, v7 offset:21568                           // 000000029AF8: D86C5440 49000007
	ds_read_b32 v74, v7 offset:21632                           // 000000029B00: D86C5480 4A000007
	ds_read_b32 v75, v7 offset:21696                           // 000000029B08: D86C54C0 4B000007
	ds_read_b32 v76, v7 offset:21760                           // 000000029B10: D86C5500 4C000007
	ds_read_b32 v77, v7 offset:21824                           // 000000029B18: D86C5540 4D000007
	ds_read_b32 v78, v7 offset:21888                           // 000000029B20: D86C5580 4E000007
	ds_read_b32 v79, v7 offset:21952                           // 000000029B28: D86C55C0 4F000007
	v_mul_f32_e32 v40, v51, v40                                // 000000029B30: 0A505133
	v_mov_b32_e32 v15, v144                                    // 000000029B34: 7E1E0390
	v_add_f32_e32 v15, v145, v15                               // 000000029B38: 021E1F91
	v_add_f32_e32 v15, v146, v15                               // 000000029B3C: 021E1F92
	v_add_f32_e32 v15, v147, v15                               // 000000029B40: 021E1F93
	v_add_f32_e32 v15, v148, v15                               // 000000029B44: 021E1F94
	v_add_f32_e32 v15, v149, v15                               // 000000029B48: 021E1F95
	v_add_f32_e32 v15, v150, v15                               // 000000029B4C: 021E1F96
	v_add_f32_e32 v15, v151, v15                               // 000000029B50: 021E1F97
	v_add_f32_e32 v15, v152, v15                               // 000000029B54: 021E1F98
	v_add_f32_e32 v15, v153, v15                               // 000000029B58: 021E1F99
	v_add_f32_e32 v15, v154, v15                               // 000000029B5C: 021E1F9A
	v_add_f32_e32 v15, v155, v15                               // 000000029B60: 021E1F9B
	v_add_f32_e32 v15, v156, v15                               // 000000029B64: 021E1F9C
	v_add_f32_e32 v15, v157, v15                               // 000000029B68: 021E1F9D
	v_add_f32_e32 v15, v158, v15                               // 000000029B6C: 021E1F9E
	v_add_f32_e32 v15, v159, v15                               // 000000029B70: 021E1F9F
	v_add_f32_e32 v40, v15, v40                                // 000000029B74: 0250510F
	s_waitcnt lgkmcnt(0)                                       // 000000029B78: BF8CC07F
	v_max3_f32 v48, |v64|, |v65|, v48                          // 000000029B7C: D1D30330 04C28340
	v_max3_f32 v48, |v66|, |v67|, v48                          // 000000029B84: D1D30330 04C28742
	v_max3_f32 v48, |v68|, |v69|, v48                          // 000000029B8C: D1D30330 04C28B44
	v_max3_f32 v48, |v70|, |v71|, v48                          // 000000029B94: D1D30330 04C28F46
	v_max3_f32 v48, |v72|, |v73|, v48                          // 000000029B9C: D1D30330 04C29348
	v_max3_f32 v48, |v74|, |v75|, v48                          // 000000029BA4: D1D30330 04C2974A
	v_max3_f32 v48, |v76|, |v77|, v48                          // 000000029BAC: D1D30330 04C29B4C
	v_max3_f32 v48, |v78|, |v79|, v48                          // 000000029BB4: D1D30330 04C29F4E
	s_nop 2                                                    // 000000029BBC: BF800002
	v_rcp_f32_e32 v48, v48                                     // 000000029BC0: 7E604530
	s_nop 1                                                    // 000000029BC4: BF800001
	v_mul_f32_e32 v48, 0x42fe0000, v48                         // 000000029BC8: 0A6060FF 42FE0000
	v_mul_f32_e32 v144, v48, v240                              // 000000029BD0: 0B21E130
	v_mul_f32_e32 v145, v48, v241                              // 000000029BD4: 0B23E330
	v_mul_f32_e32 v146, v48, v242                              // 000000029BD8: 0B25E530
	v_mul_f32_e32 v147, v48, v243                              // 000000029BDC: 0B27E730
	v_mul_f32_e32 v148, v48, v244                              // 000000029BE0: 0B29E930
	v_mul_f32_e32 v149, v48, v245                              // 000000029BE4: 0B2BEB30
	v_mul_f32_e32 v150, v48, v246                              // 000000029BE8: 0B2DED30
	v_mul_f32_e32 v151, v48, v247                              // 000000029BEC: 0B2FEF30
	v_mul_f32_e32 v152, v48, v248                              // 000000029BF0: 0B31F130
	v_mul_f32_e32 v153, v48, v249                              // 000000029BF4: 0B33F330
	v_mul_f32_e32 v154, v48, v250                              // 000000029BF8: 0B35F530
	v_mul_f32_e32 v155, v48, v251                              // 000000029BFC: 0B37F730
	v_mul_f32_e32 v156, v48, v252                              // 000000029C00: 0B39F930
	v_mul_f32_e32 v157, v48, v253                              // 000000029C04: 0B3BFB30
	v_mul_f32_e32 v158, v48, v254                              // 000000029C08: 0B3DFD30
	v_mul_f32_e32 v159, v48, v255                              // 000000029C0C: 0B3FFF30
	v_cvt_i32_f32_e32 v144, v144                               // 000000029C10: 7F201190
	v_cvt_i32_f32_e32 v145, v145                               // 000000029C14: 7F221191
	v_cvt_i32_f32_e32 v146, v146                               // 000000029C18: 7F241192
	v_cvt_i32_f32_e32 v147, v147                               // 000000029C1C: 7F261193
	v_cvt_i32_f32_e32 v148, v148                               // 000000029C20: 7F281194
	v_cvt_i32_f32_e32 v149, v149                               // 000000029C24: 7F2A1195
	v_cvt_i32_f32_e32 v150, v150                               // 000000029C28: 7F2C1196
	v_cvt_i32_f32_e32 v151, v151                               // 000000029C2C: 7F2E1197
	v_cvt_i32_f32_e32 v152, v152                               // 000000029C30: 7F301198
	v_cvt_i32_f32_e32 v153, v153                               // 000000029C34: 7F321199
	v_cvt_i32_f32_e32 v154, v154                               // 000000029C38: 7F34119A
	v_cvt_i32_f32_e32 v155, v155                               // 000000029C3C: 7F36119B
	v_cvt_i32_f32_e32 v156, v156                               // 000000029C40: 7F38119C
	v_cvt_i32_f32_e32 v157, v157                               // 000000029C44: 7F3A119D
	v_cvt_i32_f32_e32 v158, v158                               // 000000029C48: 7F3C119E
	v_cvt_i32_f32_e32 v159, v159                               // 000000029C4C: 7F3E119F
	v_perm_b32 v144, v145, v144, s53                           // 000000029C50: D1ED0090 00D72191
	v_perm_b32 v144, v146, v144, s54                           // 000000029C58: D1ED0090 00DB2192
	v_perm_b32 v144, v147, v144, s55                           // 000000029C60: D1ED0090 00DF2193
	v_perm_b32 v145, v149, v148, s53                           // 000000029C68: D1ED0091 00D72995
	v_perm_b32 v145, v150, v145, s54                           // 000000029C70: D1ED0091 00DB2396
	v_perm_b32 v145, v151, v145, s55                           // 000000029C78: D1ED0091 00DF2397
	v_perm_b32 v146, v153, v152, s53                           // 000000029C80: D1ED0092 00D73199
	v_perm_b32 v146, v154, v146, s54                           // 000000029C88: D1ED0092 00DB259A
	v_perm_b32 v146, v155, v146, s55                           // 000000029C90: D1ED0092 00DF259B
	v_perm_b32 v147, v157, v156, s53                           // 000000029C98: D1ED0093 00D7399D
	v_perm_b32 v147, v158, v147, s54                           // 000000029CA0: D1ED0093 00DB279E
	v_perm_b32 v147, v159, v147, s55                           // 000000029CA8: D1ED0093 00DF279F
	ds_write_b32 v10, v144 offset:33280                        // 000000029CB0: D81A8200 0000900A
	ds_write_b32 v10, v145 offset:34304                        // 000000029CB8: D81A8600 0000910A
	ds_write_b32 v10, v146 offset:35328                        // 000000029CC0: D81A8A00 0000920A
	ds_write_b32 v10, v147 offset:36352                        // 000000029CC8: D81A8E00 0000930A
	v_add_f32_e32 v224, v224, v192                             // 000000029CD0: 03C181E0
	v_add_f32_e32 v225, v225, v193                             // 000000029CD4: 03C383E1
	v_add_f32_e32 v226, v226, v194                             // 000000029CD8: 03C585E2
	v_add_f32_e32 v227, v227, v195                             // 000000029CDC: 03C787E3
	v_add_f32_e32 v228, v228, v196                             // 000000029CE0: 03C989E4
	v_add_f32_e32 v229, v229, v197                             // 000000029CE4: 03CB8BE5
	v_add_f32_e32 v230, v230, v198                             // 000000029CE8: 03CD8DE6
	v_add_f32_e32 v231, v231, v199                             // 000000029CEC: 03CF8FE7
	v_rcp_f32_e32 v46, v48                                     // 000000029CF0: 7E5C4530
	s_waitcnt lgkmcnt(0)                                       // 000000029CF4: BF8CC07F
	s_barrier                                                  // 000000029CF8: BF8A0000
	ds_read_b64 v[144:145], v9 offset:33280                    // 000000029CFC: D8EC8200 90000009
	ds_read_b64 v[146:147], v9 offset:33408                    // 000000029D04: D8EC8280 92000009
	ds_read_b64 v[148:149], v9 offset:34304                    // 000000029D0C: D8EC8600 94000009
	ds_read_b64 v[150:151], v9 offset:34432                    // 000000029D14: D8EC8680 96000009
	ds_read_b64 v[152:153], v9 offset:35328                    // 000000029D1C: D8EC8A00 98000009
	ds_read_b64 v[154:155], v9 offset:35456                    // 000000029D24: D8EC8A80 9A000009
	ds_read_b64 v[156:157], v9 offset:36352                    // 000000029D2C: D8EC8E00 9C000009
	ds_read_b64 v[158:159], v9 offset:36480                    // 000000029D34: D8EC8E80 9E000009
	v_mov_b32_dpp v64, v43 row_shr:4 row_mask:0xf bank_mask:0xf// 000000029D3C: 7E8002FA FF01142B
	v_mov_b32_dpp v65, v43 row_shl:4 row_mask:0xf bank_mask:0xf// 000000029D44: 7E8202FA FF01042B
	v_cndmask_b32_e64 v248, v43, v64, s[44:45]                 // 000000029D4C: D10000F8 00B2812B
	v_cndmask_b32_e64 v249, v65, v43, s[44:45]                 // 000000029D54: D10000F9 00B25741
	v_mov_b32_dpp v64, v248 row_shr:8 row_mask:0xf bank_mask:0xf// 000000029D5C: 7E8002FA FF0118F8
	v_mov_b32_dpp v65, v248 row_shl:8 row_mask:0xf bank_mask:0xf// 000000029D64: 7E8202FA FF0108F8
	v_mov_b32_dpp v66, v249 row_shr:8 row_mask:0xf bank_mask:0xf// 000000029D6C: 7E8402FA FF0118F9
	v_mov_b32_dpp v67, v249 row_shl:8 row_mask:0xf bank_mask:0xf// 000000029D74: 7E8602FA FF0108F9
	v_mov_b32_e32 v68, v248                                    // 000000029D7C: 7E8803F8
	v_mov_b32_e32 v69, v249                                    // 000000029D80: 7E8A03F9
	v_cndmask_b32_e64 v248, v68, v64, s[42:43]                 // 000000029D84: D10000F8 00AA8144
	v_cndmask_b32_e64 v250, v68, v65, s[78:79]                 // 000000029D8C: D10000FA 013A8344
	v_cndmask_b32_e64 v249, v69, v66, s[42:43]                 // 000000029D94: D10000F9 00AA8545
	v_cndmask_b32_e64 v251, v69, v67, s[78:79]                 // 000000029D9C: D10000FB 013A8745
	v_mov_b32_dpp v64, v58 row_shr:4 row_mask:0xf bank_mask:0xf// 000000029DA4: 7E8002FA FF01143A
	v_mov_b32_dpp v65, v58 row_shl:4 row_mask:0xf bank_mask:0xf// 000000029DAC: 7E8202FA FF01043A
	v_cndmask_b32_e64 v252, v58, v64, s[44:45]                 // 000000029DB4: D10000FC 00B2813A
	v_cndmask_b32_e64 v253, v65, v58, s[44:45]                 // 000000029DBC: D10000FD 00B27541
	v_mov_b32_dpp v64, v252 row_shr:8 row_mask:0xf bank_mask:0xf// 000000029DC4: 7E8002FA FF0118FC
	v_mov_b32_dpp v65, v252 row_shl:8 row_mask:0xf bank_mask:0xf// 000000029DCC: 7E8202FA FF0108FC
	v_mov_b32_dpp v66, v253 row_shr:8 row_mask:0xf bank_mask:0xf// 000000029DD4: 7E8402FA FF0118FD
	v_mov_b32_dpp v67, v253 row_shl:8 row_mask:0xf bank_mask:0xf// 000000029DDC: 7E8602FA FF0108FD
	v_mov_b32_e32 v68, v252                                    // 000000029DE4: 7E8803FC
	v_mov_b32_e32 v69, v253                                    // 000000029DE8: 7E8A03FD
	v_cndmask_b32_e64 v252, v68, v64, s[42:43]                 // 000000029DEC: D10000FC 00AA8144
	v_cndmask_b32_e64 v254, v68, v65, s[78:79]                 // 000000029DF4: D10000FE 013A8344
	v_cndmask_b32_e64 v253, v69, v66, s[42:43]                 // 000000029DFC: D10000FD 00AA8545
	v_cndmask_b32_e64 v255, v69, v67, s[78:79]                 // 000000029E04: D10000FF 013A8745
	v_cvt_f32_i32_e32 v160, v160                               // 000000029E0C: 7F400BA0
	v_cvt_f32_i32_e32 v161, v161                               // 000000029E10: 7F420BA1
	v_cvt_f32_i32_e32 v162, v162                               // 000000029E14: 7F440BA2
	v_cvt_f32_i32_e32 v163, v163                               // 000000029E18: 7F460BA3
	v_cvt_f32_i32_e32 v164, v164                               // 000000029E1C: 7F480BA4
	v_cvt_f32_i32_e32 v165, v165                               // 000000029E20: 7F4A0BA5
	v_cvt_f32_i32_e32 v166, v166                               // 000000029E24: 7F4C0BA6
	v_cvt_f32_i32_e32 v167, v167                               // 000000029E28: 7F4E0BA7
	v_cvt_f32_i32_e32 v168, v168                               // 000000029E2C: 7F500BA8
	v_cvt_f32_i32_e32 v169, v169                               // 000000029E30: 7F520BA9
	v_cvt_f32_i32_e32 v170, v170                               // 000000029E34: 7F540BAA
	v_cvt_f32_i32_e32 v171, v171                               // 000000029E38: 7F560BAB
	v_cvt_f32_i32_e32 v172, v172                               // 000000029E3C: 7F580BAC
	v_cvt_f32_i32_e32 v173, v173                               // 000000029E40: 7F5A0BAD
	v_cvt_f32_i32_e32 v174, v174                               // 000000029E44: 7F5C0BAE
	v_cvt_f32_i32_e32 v175, v175                               // 000000029E48: 7F5E0BAF
	v_mul_f32_e32 v160, v21, v160                              // 000000029E4C: 0B414115
	v_mul_f32_e32 v161, v21, v161                              // 000000029E50: 0B434315
	v_mul_f32_e32 v162, v21, v162                              // 000000029E54: 0B454515
	v_mul_f32_e32 v163, v21, v163                              // 000000029E58: 0B474715
	v_mul_f32_e32 v164, v21, v164                              // 000000029E5C: 0B494915
	v_mul_f32_e32 v165, v21, v165                              // 000000029E60: 0B4B4B15
	v_mul_f32_e32 v166, v21, v166                              // 000000029E64: 0B4D4D15
	v_mul_f32_e32 v167, v21, v167                              // 000000029E68: 0B4F4F15
	v_mul_f32_e32 v168, v21, v168                              // 000000029E6C: 0B515115
	v_mul_f32_e32 v169, v21, v169                              // 000000029E70: 0B535315
	v_mul_f32_e32 v170, v21, v170                              // 000000029E74: 0B555515
	v_mul_f32_e32 v171, v21, v171                              // 000000029E78: 0B575715
	v_mul_f32_e32 v172, v21, v172                              // 000000029E7C: 0B595915
	v_mul_f32_e32 v173, v21, v173                              // 000000029E80: 0B5B5B15
	v_mul_f32_e32 v174, v21, v174                              // 000000029E84: 0B5D5D15
	v_mul_f32_e32 v175, v21, v175                              // 000000029E88: 0B5F5F15
	v_mul_f32_dpp v160, v248, v160 quad_perm:[0,0,0,0] row_mask:0xf bank_mask:0xf// 000000029E8C: 0B4140FA FF0000F8
	v_mul_f32_dpp v161, v248, v161 quad_perm:[1,1,1,1] row_mask:0xf bank_mask:0xf// 000000029E94: 0B4342FA FF0055F8
	v_mul_f32_dpp v162, v248, v162 quad_perm:[2,2,2,2] row_mask:0xf bank_mask:0xf// 000000029E9C: 0B4544FA FF00AAF8
	v_mul_f32_dpp v163, v248, v163 quad_perm:[3,3,3,3] row_mask:0xf bank_mask:0xf// 000000029EA4: 0B4746FA FF00FFF8
	v_mul_f32_dpp v164, v249, v164 quad_perm:[0,0,0,0] row_mask:0xf bank_mask:0xf// 000000029EAC: 0B4948FA FF0000F9
	v_mul_f32_dpp v165, v249, v165 quad_perm:[1,1,1,1] row_mask:0xf bank_mask:0xf// 000000029EB4: 0B4B4AFA FF0055F9
	v_mul_f32_dpp v166, v249, v166 quad_perm:[2,2,2,2] row_mask:0xf bank_mask:0xf// 000000029EBC: 0B4D4CFA FF00AAF9
	v_mul_f32_dpp v167, v249, v167 quad_perm:[3,3,3,3] row_mask:0xf bank_mask:0xf// 000000029EC4: 0B4F4EFA FF00FFF9
	v_mul_f32_dpp v168, v250, v168 quad_perm:[0,0,0,0] row_mask:0xf bank_mask:0xf// 000000029ECC: 0B5150FA FF0000FA
	v_mul_f32_dpp v169, v250, v169 quad_perm:[1,1,1,1] row_mask:0xf bank_mask:0xf// 000000029ED4: 0B5352FA FF0055FA
	v_mul_f32_dpp v170, v250, v170 quad_perm:[2,2,2,2] row_mask:0xf bank_mask:0xf// 000000029EDC: 0B5554FA FF00AAFA
	v_mul_f32_dpp v171, v250, v171 quad_perm:[3,3,3,3] row_mask:0xf bank_mask:0xf// 000000029EE4: 0B5756FA FF00FFFA
	v_mul_f32_dpp v172, v251, v172 quad_perm:[0,0,0,0] row_mask:0xf bank_mask:0xf// 000000029EEC: 0B5958FA FF0000FB
	v_mul_f32_dpp v173, v251, v173 quad_perm:[1,1,1,1] row_mask:0xf bank_mask:0xf// 000000029EF4: 0B5B5AFA FF0055FB
	v_mul_f32_dpp v174, v251, v174 quad_perm:[2,2,2,2] row_mask:0xf bank_mask:0xf// 000000029EFC: 0B5D5CFA FF00AAFB
	v_mul_f32_dpp v175, v251, v175 quad_perm:[3,3,3,3] row_mask:0xf bank_mask:0xf// 000000029F04: 0B5F5EFA FF00FFFB
	s_cmp_le_i32 s90, s89                                      // 000000029F0C: BF05595A
	s_cbranch_scc1 label_9FB6                                  // 000000029F10: BF850071
	v_mov_b32_e32 v66, 0xff800000                              // 000000029F14: 7E8402FF FF800000
	s_mov_b32 s60, s90                                         // 000000029F1C: BEBC005A
	s_add_u32 s61, s89, 0xff                                   // 000000029F20: 803DFF59 000000FF
	v_mov_b32_e32 v64, s61                                     // 000000029F28: 7E80023D
	v_lshrrev_b32_e32 v240, 4, v0                              // 000000029F2C: 21E00084
	v_mul_i32_i24_e32 v240, 4, v240                            // 000000029F30: 0DE1E084
	v_add_u32_e32 v240, s60, v240                              // 000000029F34: 69E1E03C
	s_mov_b32 s61, 3                                           // 000000029F38: BEBD0083
	s_mul_i32 s60, 16, s7                                      // 000000029F3C: 923C0790
	v_sub_u32_e64 v240, v240, s61                              // 000000029F40: D13500F0 00007BF0
	v_add_u32_e32 v240, s60, v240                              // 000000029F48: 69E1E03C
	v_add_u32_e32 v241, 1, v240                                // 000000029F4C: 69E3E081
	v_add_u32_e32 v242, 2, v240                                // 000000029F50: 69E5E082
	v_add_u32_e32 v243, 3, v240                                // 000000029F54: 69E7E083
	v_cmp_le_u32_e64 s[40:41], v240, v64                       // 000000029F58: D0CB0028 000281F0
	v_add_u32_e32 v240, 64, v240                               // 000000029F60: 69E1E0C0
	s_nop 0                                                    // 000000029F64: BF800000
	v_cndmask_b32_e64 v160, v66, v160, s[40:41]                // 000000029F68: D10000A0 00A34142
	v_cmp_le_u32_e64 s[40:41], v241, v64                       // 000000029F70: D0CB0028 000281F1
	v_add_u32_e32 v241, 64, v241                               // 000000029F78: 69E3E2C0
	s_nop 0                                                    // 000000029F7C: BF800000
	v_cndmask_b32_e64 v161, v66, v161, s[40:41]                // 000000029F80: D10000A1 00A34342
	v_cmp_le_u32_e64 s[40:41], v242, v64                       // 000000029F88: D0CB0028 000281F2
	v_add_u32_e32 v242, 64, v242                               // 000000029F90: 69E5E4C0
	s_nop 0                                                    // 000000029F94: BF800000
	v_cndmask_b32_e64 v162, v66, v162, s[40:41]                // 000000029F98: D10000A2 00A34542
	v_cmp_le_u32_e64 s[40:41], v243, v64                       // 000000029FA0: D0CB0028 000281F3
	v_add_u32_e32 v243, 64, v243                               // 000000029FA8: 69E7E6C0
	s_nop 0                                                    // 000000029FAC: BF800000
	v_cndmask_b32_e64 v163, v66, v163, s[40:41]                // 000000029FB0: D10000A3 00A34742
	v_cmp_le_u32_e64 s[40:41], v240, v64                       // 000000029FB8: D0CB0028 000281F0
	v_add_u32_e32 v240, 64, v240                               // 000000029FC0: 69E1E0C0
	s_nop 0                                                    // 000000029FC4: BF800000
	v_cndmask_b32_e64 v164, v66, v164, s[40:41]                // 000000029FC8: D10000A4 00A34942
	v_cmp_le_u32_e64 s[40:41], v241, v64                       // 000000029FD0: D0CB0028 000281F1
	v_add_u32_e32 v241, 64, v241                               // 000000029FD8: 69E3E2C0
	s_nop 0                                                    // 000000029FDC: BF800000
	v_cndmask_b32_e64 v165, v66, v165, s[40:41]                // 000000029FE0: D10000A5 00A34B42
	v_cmp_le_u32_e64 s[40:41], v242, v64                       // 000000029FE8: D0CB0028 000281F2
	v_add_u32_e32 v242, 64, v242                               // 000000029FF0: 69E5E4C0
	s_nop 0                                                    // 000000029FF4: BF800000
	v_cndmask_b32_e64 v166, v66, v166, s[40:41]                // 000000029FF8: D10000A6 00A34D42
	v_cmp_le_u32_e64 s[40:41], v243, v64                       // 00000002A000: D0CB0028 000281F3
	v_add_u32_e32 v243, 64, v243                               // 00000002A008: 69E7E6C0
	s_nop 0                                                    // 00000002A00C: BF800000
	v_cndmask_b32_e64 v167, v66, v167, s[40:41]                // 00000002A010: D10000A7 00A34F42
	v_cmp_le_u32_e64 s[40:41], v240, v64                       // 00000002A018: D0CB0028 000281F0
	v_add_u32_e32 v240, 64, v240                               // 00000002A020: 69E1E0C0
	s_nop 0                                                    // 00000002A024: BF800000
	v_cndmask_b32_e64 v168, v66, v168, s[40:41]                // 00000002A028: D10000A8 00A35142
	v_cmp_le_u32_e64 s[40:41], v241, v64                       // 00000002A030: D0CB0028 000281F1
	v_add_u32_e32 v241, 64, v241                               // 00000002A038: 69E3E2C0
	s_nop 0                                                    // 00000002A03C: BF800000
	v_cndmask_b32_e64 v169, v66, v169, s[40:41]                // 00000002A040: D10000A9 00A35342
	v_cmp_le_u32_e64 s[40:41], v242, v64                       // 00000002A048: D0CB0028 000281F2
	v_add_u32_e32 v242, 64, v242                               // 00000002A050: 69E5E4C0
	s_nop 0                                                    // 00000002A054: BF800000
	v_cndmask_b32_e64 v170, v66, v170, s[40:41]                // 00000002A058: D10000AA 00A35542
	v_cmp_le_u32_e64 s[40:41], v243, v64                       // 00000002A060: D0CB0028 000281F3
	v_add_u32_e32 v243, 64, v243                               // 00000002A068: 69E7E6C0
	s_nop 0                                                    // 00000002A06C: BF800000
	v_cndmask_b32_e64 v171, v66, v171, s[40:41]                // 00000002A070: D10000AB 00A35742
	v_cmp_le_u32_e64 s[40:41], v240, v64                       // 00000002A078: D0CB0028 000281F0
	v_add_u32_e32 v240, 64, v240                               // 00000002A080: 69E1E0C0
	s_nop 0                                                    // 00000002A084: BF800000
	v_cndmask_b32_e64 v172, v66, v172, s[40:41]                // 00000002A088: D10000AC 00A35942
	v_cmp_le_u32_e64 s[40:41], v241, v64                       // 00000002A090: D0CB0028 000281F1
	v_add_u32_e32 v241, 64, v241                               // 00000002A098: 69E3E2C0
	s_nop 0                                                    // 00000002A09C: BF800000
	v_cndmask_b32_e64 v173, v66, v173, s[40:41]                // 00000002A0A0: D10000AD 00A35B42
	v_cmp_le_u32_e64 s[40:41], v242, v64                       // 00000002A0A8: D0CB0028 000281F2
	v_add_u32_e32 v242, 64, v242                               // 00000002A0B0: 69E5E4C0
	s_nop 0                                                    // 00000002A0B4: BF800000
	v_cndmask_b32_e64 v174, v66, v174, s[40:41]                // 00000002A0B8: D10000AE 00A35D42
	v_cmp_le_u32_e64 s[40:41], v243, v64                       // 00000002A0C0: D0CB0028 000281F3
	v_add_u32_e32 v243, 64, v243                               // 00000002A0C8: 69E7E6C0
	s_nop 0                                                    // 00000002A0CC: BF800000
	v_cndmask_b32_e64 v175, v66, v175, s[40:41]                // 00000002A0D0: D10000AF 00A35F42

000000000002a0d8 <label_9FB6>:
	s_add_u32 s90, s91, s90                                    // 00000002A0D8: 805A5A5B
	v_mov_b32_e32 v48, v160                                    // 00000002A0DC: 7E6003A0
	v_max3_f32 v48, v160, v161, v48                            // 00000002A0E0: D1D30030 04C343A0
	v_max3_f32 v48, v162, v163, v48                            // 00000002A0E8: D1D30030 04C347A2
	v_max3_f32 v48, v164, v165, v48                            // 00000002A0F0: D1D30030 04C34BA4
	v_max3_f32 v48, v166, v167, v48                            // 00000002A0F8: D1D30030 04C34FA6
	v_max3_f32 v48, v168, v169, v48                            // 00000002A100: D1D30030 04C353A8
	v_max3_f32 v48, v170, v171, v48                            // 00000002A108: D1D30030 04C357AA
	v_max3_f32 v48, v172, v173, v48                            // 00000002A110: D1D30030 04C35BAC
	v_max3_f32 v48, v174, v175, v48                            // 00000002A118: D1D30030 04C35FAE
	ds_write_b32 v8, v48 offset:16896                          // 00000002A120: D81A4200 00003008
	v_mul_f32_e32 v232, v52, v232                              // 00000002A128: 0BD1D134
	v_mul_f32_e32 v233, v52, v233                              // 00000002A12C: 0BD3D334
	v_mul_f32_e32 v234, v52, v234                              // 00000002A130: 0BD5D534
	v_mul_f32_e32 v235, v52, v235                              // 00000002A134: 0BD7D734
	v_mul_f32_e32 v236, v52, v236                              // 00000002A138: 0BD9D934
	v_mul_f32_e32 v237, v52, v237                              // 00000002A13C: 0BDBDB34
	v_mul_f32_e32 v238, v52, v238                              // 00000002A140: 0BDDDD34
	v_mul_f32_e32 v239, v52, v239                              // 00000002A144: 0BDFDF34
	s_waitcnt lgkmcnt(0)                                       // 00000002A148: BF8CC07F
	s_barrier                                                  // 00000002A14C: BF8A0000
	ds_read_b32 v64, v7 offset:16896                           // 00000002A150: D86C4200 40000007
	ds_read_b32 v65, v7 offset:16960                           // 00000002A158: D86C4240 41000007
	ds_read_b32 v66, v7 offset:17024                           // 00000002A160: D86C4280 42000007
	ds_read_b32 v67, v7 offset:17088                           // 00000002A168: D86C42C0 43000007
	ds_read_b32 v68, v7 offset:17152                           // 00000002A170: D86C4300 44000007
	ds_read_b32 v69, v7 offset:17216                           // 00000002A178: D86C4340 45000007
	ds_read_b32 v70, v7 offset:17280                           // 00000002A180: D86C4380 46000007
	ds_read_b32 v71, v7 offset:17344                           // 00000002A188: D86C43C0 47000007
	ds_read_b32 v72, v7 offset:17408                           // 00000002A190: D86C4400 48000007
	ds_read_b32 v73, v7 offset:17472                           // 00000002A198: D86C4440 49000007
	ds_read_b32 v74, v7 offset:17536                           // 00000002A1A0: D86C4480 4A000007
	ds_read_b32 v75, v7 offset:17600                           // 00000002A1A8: D86C44C0 4B000007
	ds_read_b32 v76, v7 offset:17664                           // 00000002A1B0: D86C4500 4C000007
	ds_read_b32 v77, v7 offset:17728                           // 00000002A1B8: D86C4540 4D000007
	ds_read_b32 v78, v7 offset:17792                           // 00000002A1C0: D86C4580 4E000007
	ds_read_b32 v79, v7 offset:17856                           // 00000002A1C8: D86C45C0 4F000007
	v_cvt_f32_i32_e32 v200, v200                               // 00000002A1D0: 7F900BC8
	v_cvt_f32_i32_e32 v201, v201                               // 00000002A1D4: 7F920BC9
	v_cvt_f32_i32_e32 v202, v202                               // 00000002A1D8: 7F940BCA
	v_cvt_f32_i32_e32 v203, v203                               // 00000002A1DC: 7F960BCB
	v_cvt_f32_i32_e32 v204, v204                               // 00000002A1E0: 7F980BCC
	v_cvt_f32_i32_e32 v205, v205                               // 00000002A1E4: 7F9A0BCD
	v_cvt_f32_i32_e32 v206, v206                               // 00000002A1E8: 7F9C0BCE
	v_cvt_f32_i32_e32 v207, v207                               // 00000002A1EC: 7F9E0BCF
	v_mul_f32_e32 v200, v47, v200                              // 00000002A1F0: 0B91912F
	v_mul_f32_e32 v201, v47, v201                              // 00000002A1F4: 0B93932F
	v_mul_f32_e32 v202, v47, v202                              // 00000002A1F8: 0B95952F
	v_mul_f32_e32 v203, v47, v203                              // 00000002A1FC: 0B97972F
	v_mul_f32_e32 v204, v47, v204                              // 00000002A200: 0B99992F
	v_mul_f32_e32 v205, v47, v205                              // 00000002A204: 0B9B9B2F
	v_mul_f32_e32 v206, v47, v206                              // 00000002A208: 0B9D9D2F
	v_mul_f32_e32 v207, v47, v207                              // 00000002A20C: 0B9F9F2F
	s_waitcnt lgkmcnt(0)                                       // 00000002A210: BF8CC07F
	v_max3_f32 v48, v64, v65, v48                              // 00000002A214: D1D30030 04C28340
	v_max3_f32 v48, v66, v67, v48                              // 00000002A21C: D1D30030 04C28742
	v_max3_f32 v48, v68, v69, v48                              // 00000002A224: D1D30030 04C28B44
	v_max3_f32 v48, v70, v71, v48                              // 00000002A22C: D1D30030 04C28F46
	v_max3_f32 v48, v72, v73, v48                              // 00000002A234: D1D30030 04C29348
	v_max3_f32 v48, v74, v75, v48                              // 00000002A23C: D1D30030 04C2974A
	v_max3_f32 v48, v76, v77, v48                              // 00000002A244: D1D30030 04C29B4C
	v_max3_f32 v48, v78, v79, v48                              // 00000002A24C: D1D30030 04C29F4E
	v_mov_b32_e32 v64, 0xff800000                              // 00000002A254: 7E8002FF FF800000
	v_cmp_eq_u32_e64 s[40:41], v64, v14                        // 00000002A25C: D0CA0028 00021D40
	s_nop 1                                                    // 00000002A264: BF800001
	v_max_f32_e32 v15, v48, v14                                // 00000002A268: 161E1D30
	v_mul_f32_e32 v53, s64, v15                                // 00000002A26C: 0A6A1E40
	v_fma_f32 v160, v160, s64, -v53                            // 00000002A270: D1CB00A0 84D481A0
	v_fma_f32 v161, v161, s64, -v53                            // 00000002A278: D1CB00A1 84D481A1
	v_fma_f32 v162, v162, s64, -v53                            // 00000002A280: D1CB00A2 84D481A2
	v_fma_f32 v163, v163, s64, -v53                            // 00000002A288: D1CB00A3 84D481A3
	v_fma_f32 v164, v164, s64, -v53                            // 00000002A290: D1CB00A4 84D481A4
	v_fma_f32 v165, v165, s64, -v53                            // 00000002A298: D1CB00A5 84D481A5
	v_fma_f32 v166, v166, s64, -v53                            // 00000002A2A0: D1CB00A6 84D481A6
	v_fma_f32 v167, v167, s64, -v53                            // 00000002A2A8: D1CB00A7 84D481A7
	v_fma_f32 v168, v168, s64, -v53                            // 00000002A2B0: D1CB00A8 84D481A8
	v_fma_f32 v169, v169, s64, -v53                            // 00000002A2B8: D1CB00A9 84D481A9
	v_fma_f32 v170, v170, s64, -v53                            // 00000002A2C0: D1CB00AA 84D481AA
	v_fma_f32 v171, v171, s64, -v53                            // 00000002A2C8: D1CB00AB 84D481AB
	v_fma_f32 v172, v172, s64, -v53                            // 00000002A2D0: D1CB00AC 84D481AC
	v_fma_f32 v173, v173, s64, -v53                            // 00000002A2D8: D1CB00AD 84D481AD
	v_fma_f32 v174, v174, s64, -v53                            // 00000002A2E0: D1CB00AE 84D481AE
	v_fma_f32 v175, v175, s64, -v53                            // 00000002A2E8: D1CB00AF 84D481AF
	v_exp_f32_e32 v160, v160                                   // 00000002A2F0: 7F4041A0
	v_exp_f32_e32 v161, v161                                   // 00000002A2F4: 7F4241A1
	v_exp_f32_e32 v162, v162                                   // 00000002A2F8: 7F4441A2
	v_exp_f32_e32 v163, v163                                   // 00000002A2FC: 7F4641A3
	v_exp_f32_e32 v164, v164                                   // 00000002A300: 7F4841A4
	v_exp_f32_e32 v165, v165                                   // 00000002A304: 7F4A41A5
	v_exp_f32_e32 v166, v166                                   // 00000002A308: 7F4C41A6
	v_exp_f32_e32 v167, v167                                   // 00000002A30C: 7F4E41A7
	v_exp_f32_e32 v168, v168                                   // 00000002A310: 7F5041A8
	v_exp_f32_e32 v169, v169                                   // 00000002A314: 7F5241A9
	v_exp_f32_e32 v170, v170                                   // 00000002A318: 7F5441AA
	v_exp_f32_e32 v171, v171                                   // 00000002A31C: 7F5641AB
	v_exp_f32_e32 v172, v172                                   // 00000002A320: 7F5841AC
	v_exp_f32_e32 v173, v173                                   // 00000002A324: 7F5A41AD
	v_exp_f32_e32 v174, v174                                   // 00000002A328: 7F5C41AE
	v_exp_f32_e32 v175, v175                                   // 00000002A32C: 7F5E41AF
	v_mul_f32_dpp v240, v252, v160 quad_perm:[0,0,0,0] row_mask:0xf bank_mask:0xf// 00000002A330: 0BE140FA FF0000FC
	v_mul_f32_dpp v241, v252, v161 quad_perm:[1,1,1,1] row_mask:0xf bank_mask:0xf// 00000002A338: 0BE342FA FF0055FC
	v_mul_f32_dpp v242, v252, v162 quad_perm:[2,2,2,2] row_mask:0xf bank_mask:0xf// 00000002A340: 0BE544FA FF00AAFC
	v_mul_f32_dpp v243, v252, v163 quad_perm:[3,3,3,3] row_mask:0xf bank_mask:0xf// 00000002A348: 0BE746FA FF00FFFC
	v_mul_f32_dpp v244, v253, v164 quad_perm:[0,0,0,0] row_mask:0xf bank_mask:0xf// 00000002A350: 0BE948FA FF0000FD
	v_mul_f32_dpp v245, v253, v165 quad_perm:[1,1,1,1] row_mask:0xf bank_mask:0xf// 00000002A358: 0BEB4AFA FF0055FD
	v_mul_f32_dpp v246, v253, v166 quad_perm:[2,2,2,2] row_mask:0xf bank_mask:0xf// 00000002A360: 0BED4CFA FF00AAFD
	v_mul_f32_dpp v247, v253, v167 quad_perm:[3,3,3,3] row_mask:0xf bank_mask:0xf// 00000002A368: 0BEF4EFA FF00FFFD
	v_mul_f32_dpp v248, v254, v168 quad_perm:[0,0,0,0] row_mask:0xf bank_mask:0xf// 00000002A370: 0BF150FA FF0000FE
	v_mul_f32_dpp v249, v254, v169 quad_perm:[1,1,1,1] row_mask:0xf bank_mask:0xf// 00000002A378: 0BF352FA FF0055FE
	v_mul_f32_dpp v250, v254, v170 quad_perm:[2,2,2,2] row_mask:0xf bank_mask:0xf// 00000002A380: 0BF554FA FF00AAFE
	v_mul_f32_dpp v251, v254, v171 quad_perm:[3,3,3,3] row_mask:0xf bank_mask:0xf// 00000002A388: 0BF756FA FF00FFFE
	v_mul_f32_dpp v252, v255, v172 quad_perm:[0,0,0,0] row_mask:0xf bank_mask:0xf// 00000002A390: 0BF958FA FF0000FF
	v_mul_f32_dpp v253, v255, v173 quad_perm:[1,1,1,1] row_mask:0xf bank_mask:0xf// 00000002A398: 0BFB5AFA FF0055FF
	v_mul_f32_dpp v254, v255, v174 quad_perm:[2,2,2,2] row_mask:0xf bank_mask:0xf// 00000002A3A0: 0BFD5CFA FF00AAFF
	v_mul_f32_dpp v255, v255, v175 quad_perm:[3,3,3,3] row_mask:0xf bank_mask:0xf// 00000002A3A8: 0BFF5EFA FF00FFFF
	v_mov_b32_e32 v48, 0x358637bd                              // 00000002A3B0: 7E6002FF 358637BD
	v_max3_f32 v48, |v240|, |v241|, v48                        // 00000002A3B8: D1D30330 04C3E3F0
	v_max3_f32 v48, |v242|, |v243|, v48                        // 00000002A3C0: D1D30330 04C3E7F2
	v_max3_f32 v48, |v244|, |v245|, v48                        // 00000002A3C8: D1D30330 04C3EBF4
	v_max3_f32 v48, |v246|, |v247|, v48                        // 00000002A3D0: D1D30330 04C3EFF6
	v_max3_f32 v48, |v248|, |v249|, v48                        // 00000002A3D8: D1D30330 04C3F3F8
	v_max3_f32 v48, |v250|, |v251|, v48                        // 00000002A3E0: D1D30330 04C3F7FA
	v_max3_f32 v48, |v252|, |v253|, v48                        // 00000002A3E8: D1D30330 04C3FBFC
	v_max3_f32 v48, |v254|, |v255|, v48                        // 00000002A3F0: D1D30330 04C3FFFE
	ds_write_b32 v8, v48 offset:20992                          // 00000002A3F8: D81A5200 00003008
	v_sub_f32_e32 v52, v14, v15                                // 00000002A400: 04681F0E
	v_cndmask_b32_e64 v52, v52, 0, s[40:41]                    // 00000002A404: D1000034 00A10134
	v_mov_b32_e32 v14, v15                                     // 00000002A40C: 7E1C030F
	v_mul_f32_e32 v52, s64, v52                                // 00000002A410: 0A686840
	v_exp_f32_e32 v52, v52                                     // 00000002A414: 7E684134
	s_waitcnt lgkmcnt(0)                                       // 00000002A418: BF8CC07F
	s_barrier                                                  // 00000002A41C: BF8A0000
	ds_read_b32 v64, v7 offset:20992                           // 00000002A420: D86C5200 40000007
	ds_read_b32 v65, v7 offset:21056                           // 00000002A428: D86C5240 41000007
	ds_read_b32 v66, v7 offset:21120                           // 00000002A430: D86C5280 42000007
	ds_read_b32 v67, v7 offset:21184                           // 00000002A438: D86C52C0 43000007
	ds_read_b32 v68, v7 offset:21248                           // 00000002A440: D86C5300 44000007
	ds_read_b32 v69, v7 offset:21312                           // 00000002A448: D86C5340 45000007
	ds_read_b32 v70, v7 offset:21376                           // 00000002A450: D86C5380 46000007
	ds_read_b32 v71, v7 offset:21440                           // 00000002A458: D86C53C0 47000007
	ds_read_b32 v72, v7 offset:21504                           // 00000002A460: D86C5400 48000007
	ds_read_b32 v73, v7 offset:21568                           // 00000002A468: D86C5440 49000007
	ds_read_b32 v74, v7 offset:21632                           // 00000002A470: D86C5480 4A000007
	ds_read_b32 v75, v7 offset:21696                           // 00000002A478: D86C54C0 4B000007
	ds_read_b32 v76, v7 offset:21760                           // 00000002A480: D86C5500 4C000007
	ds_read_b32 v77, v7 offset:21824                           // 00000002A488: D86C5540 4D000007
	ds_read_b32 v78, v7 offset:21888                           // 00000002A490: D86C5580 4E000007
	ds_read_b32 v79, v7 offset:21952                           // 00000002A498: D86C55C0 4F000007
	v_mul_f32_e32 v41, v52, v41                                // 00000002A4A0: 0A525334
	v_mov_b32_e32 v15, v160                                    // 00000002A4A4: 7E1E03A0
	v_add_f32_e32 v15, v161, v15                               // 00000002A4A8: 021E1FA1
	v_add_f32_e32 v15, v162, v15                               // 00000002A4AC: 021E1FA2
	v_add_f32_e32 v15, v163, v15                               // 00000002A4B0: 021E1FA3
	v_add_f32_e32 v15, v164, v15                               // 00000002A4B4: 021E1FA4
	v_add_f32_e32 v15, v165, v15                               // 00000002A4B8: 021E1FA5
	v_add_f32_e32 v15, v166, v15                               // 00000002A4BC: 021E1FA6
	v_add_f32_e32 v15, v167, v15                               // 00000002A4C0: 021E1FA7
	v_add_f32_e32 v15, v168, v15                               // 00000002A4C4: 021E1FA8
	v_add_f32_e32 v15, v169, v15                               // 00000002A4C8: 021E1FA9
	v_add_f32_e32 v15, v170, v15                               // 00000002A4CC: 021E1FAA
	v_add_f32_e32 v15, v171, v15                               // 00000002A4D0: 021E1FAB
	v_add_f32_e32 v15, v172, v15                               // 00000002A4D4: 021E1FAC
	v_add_f32_e32 v15, v173, v15                               // 00000002A4D8: 021E1FAD
	v_add_f32_e32 v15, v174, v15                               // 00000002A4DC: 021E1FAE
	v_add_f32_e32 v15, v175, v15                               // 00000002A4E0: 021E1FAF
	v_add_f32_e32 v41, v15, v41                                // 00000002A4E4: 0252530F
	s_waitcnt lgkmcnt(0)                                       // 00000002A4E8: BF8CC07F
	v_max3_f32 v48, |v64|, |v65|, v48                          // 00000002A4EC: D1D30330 04C28340
	v_max3_f32 v48, |v66|, |v67|, v48                          // 00000002A4F4: D1D30330 04C28742
	v_max3_f32 v48, |v68|, |v69|, v48                          // 00000002A4FC: D1D30330 04C28B44
	v_max3_f32 v48, |v70|, |v71|, v48                          // 00000002A504: D1D30330 04C28F46
	v_max3_f32 v48, |v72|, |v73|, v48                          // 00000002A50C: D1D30330 04C29348
	v_max3_f32 v48, |v74|, |v75|, v48                          // 00000002A514: D1D30330 04C2974A
	v_max3_f32 v48, |v76|, |v77|, v48                          // 00000002A51C: D1D30330 04C29B4C
	v_max3_f32 v48, |v78|, |v79|, v48                          // 00000002A524: D1D30330 04C29F4E
	s_nop 2                                                    // 00000002A52C: BF800002
	v_rcp_f32_e32 v48, v48                                     // 00000002A530: 7E604530
	s_nop 1                                                    // 00000002A534: BF800001
	v_mul_f32_e32 v48, 0x42fe0000, v48                         // 00000002A538: 0A6060FF 42FE0000
	v_mul_f32_e32 v160, v48, v240                              // 00000002A540: 0B41E130
	v_mul_f32_e32 v161, v48, v241                              // 00000002A544: 0B43E330
	v_mul_f32_e32 v162, v48, v242                              // 00000002A548: 0B45E530
	v_mul_f32_e32 v163, v48, v243                              // 00000002A54C: 0B47E730
	v_mul_f32_e32 v164, v48, v244                              // 00000002A550: 0B49E930
	v_mul_f32_e32 v165, v48, v245                              // 00000002A554: 0B4BEB30
	v_mul_f32_e32 v166, v48, v246                              // 00000002A558: 0B4DED30
	v_mul_f32_e32 v167, v48, v247                              // 00000002A55C: 0B4FEF30
	v_mul_f32_e32 v168, v48, v248                              // 00000002A560: 0B51F130
	v_mul_f32_e32 v169, v48, v249                              // 00000002A564: 0B53F330
	v_mul_f32_e32 v170, v48, v250                              // 00000002A568: 0B55F530
	v_mul_f32_e32 v171, v48, v251                              // 00000002A56C: 0B57F730
	v_mul_f32_e32 v172, v48, v252                              // 00000002A570: 0B59F930
	v_mul_f32_e32 v173, v48, v253                              // 00000002A574: 0B5BFB30
	v_mul_f32_e32 v174, v48, v254                              // 00000002A578: 0B5DFD30
	v_mul_f32_e32 v175, v48, v255                              // 00000002A57C: 0B5FFF30
	v_cvt_i32_f32_e32 v160, v160                               // 00000002A580: 7F4011A0
	v_cvt_i32_f32_e32 v161, v161                               // 00000002A584: 7F4211A1
	v_cvt_i32_f32_e32 v162, v162                               // 00000002A588: 7F4411A2
	v_cvt_i32_f32_e32 v163, v163                               // 00000002A58C: 7F4611A3
	v_cvt_i32_f32_e32 v164, v164                               // 00000002A590: 7F4811A4
	v_cvt_i32_f32_e32 v165, v165                               // 00000002A594: 7F4A11A5
	v_cvt_i32_f32_e32 v166, v166                               // 00000002A598: 7F4C11A6
	v_cvt_i32_f32_e32 v167, v167                               // 00000002A59C: 7F4E11A7
	v_cvt_i32_f32_e32 v168, v168                               // 00000002A5A0: 7F5011A8
	v_cvt_i32_f32_e32 v169, v169                               // 00000002A5A4: 7F5211A9
	v_cvt_i32_f32_e32 v170, v170                               // 00000002A5A8: 7F5411AA
	v_cvt_i32_f32_e32 v171, v171                               // 00000002A5AC: 7F5611AB
	v_cvt_i32_f32_e32 v172, v172                               // 00000002A5B0: 7F5811AC
	v_cvt_i32_f32_e32 v173, v173                               // 00000002A5B4: 7F5A11AD
	v_cvt_i32_f32_e32 v174, v174                               // 00000002A5B8: 7F5C11AE
	v_cvt_i32_f32_e32 v175, v175                               // 00000002A5BC: 7F5E11AF
	v_perm_b32 v160, v161, v160, s53                           // 00000002A5C0: D1ED00A0 00D741A1
	v_perm_b32 v160, v162, v160, s54                           // 00000002A5C8: D1ED00A0 00DB41A2
	v_perm_b32 v160, v163, v160, s55                           // 00000002A5D0: D1ED00A0 00DF41A3
	v_perm_b32 v161, v165, v164, s53                           // 00000002A5D8: D1ED00A1 00D749A5
	v_perm_b32 v161, v166, v161, s54                           // 00000002A5E0: D1ED00A1 00DB43A6
	v_perm_b32 v161, v167, v161, s55                           // 00000002A5E8: D1ED00A1 00DF43A7
	v_perm_b32 v162, v169, v168, s53                           // 00000002A5F0: D1ED00A2 00D751A9
	v_perm_b32 v162, v170, v162, s54                           // 00000002A5F8: D1ED00A2 00DB45AA
	v_perm_b32 v162, v171, v162, s55                           // 00000002A600: D1ED00A2 00DF45AB
	v_perm_b32 v163, v173, v172, s53                           // 00000002A608: D1ED00A3 00D759AD
	v_perm_b32 v163, v174, v163, s54                           // 00000002A610: D1ED00A3 00DB47AE
	v_perm_b32 v163, v175, v163, s55                           // 00000002A618: D1ED00A3 00DF47AF
	ds_write_b32 v10, v160 offset:37376                        // 00000002A620: D81A9200 0000A00A
	ds_write_b32 v10, v161 offset:38400                        // 00000002A628: D81A9600 0000A10A
	ds_write_b32 v10, v162 offset:39424                        // 00000002A630: D81A9A00 0000A20A
	ds_write_b32 v10, v163 offset:40448                        // 00000002A638: D81A9E00 0000A30A
	v_add_f32_e32 v232, v232, v200                             // 00000002A640: 03D191E8
	v_add_f32_e32 v233, v233, v201                             // 00000002A644: 03D393E9
	v_add_f32_e32 v234, v234, v202                             // 00000002A648: 03D595EA
	v_add_f32_e32 v235, v235, v203                             // 00000002A64C: 03D797EB
	v_add_f32_e32 v236, v236, v204                             // 00000002A650: 03D999EC
	v_add_f32_e32 v237, v237, v205                             // 00000002A654: 03DB9BED
	v_add_f32_e32 v238, v238, v206                             // 00000002A658: 03DD9DEE
	v_add_f32_e32 v239, v239, v207                             // 00000002A65C: 03DF9FEF
	v_rcp_f32_e32 v47, v48                                     // 00000002A660: 7E5E4530
	s_waitcnt lgkmcnt(0)                                       // 00000002A664: BF8CC07F
	s_barrier                                                  // 00000002A668: BF8A0000
	ds_read_b64 v[160:161], v9 offset:37376                    // 00000002A66C: D8EC9200 A0000009
	ds_read_b64 v[162:163], v9 offset:37504                    // 00000002A674: D8EC9280 A2000009
	ds_read_b64 v[164:165], v9 offset:38400                    // 00000002A67C: D8EC9600 A4000009
	ds_read_b64 v[166:167], v9 offset:38528                    // 00000002A684: D8EC9680 A6000009
	ds_read_b64 v[168:169], v9 offset:39424                    // 00000002A68C: D8EC9A00 A8000009
	ds_read_b64 v[170:171], v9 offset:39552                    // 00000002A694: D8EC9A80 AA000009
	ds_read_b64 v[172:173], v9 offset:40448                    // 00000002A69C: D8EC9E00 AC000009
	ds_read_b64 v[174:175], v9 offset:40576                    // 00000002A6A4: D8EC9E80 AE000009
	s_waitcnt vmcnt(15)                                        // 00000002A6AC: BF8C0F7F
	v_mfma_i32_16x16x32_i8 v[176:179], a[96:97], v[112:113], 0 // 00000002A6B0: D3D700B0 0A02E160
	buffer_load_dwordx4 a[80:83], v30, s[20:23], 0 offen offset:1024// 00000002A6B8: E05C1400 8085501E
	v_mfma_i32_16x16x32_i8 v[176:179], a[98:99], v[114:115], v[176:179]// 00000002A6C0: D3D700B0 0EC2E562
	v_mfma_i32_16x16x32_i8 v[176:179], a[100:101], v[116:117], v[176:179]// 00000002A6C8: D3D700B0 0EC2E964
	v_mfma_i32_16x16x32_i8 v[176:179], a[102:103], v[118:119], v[176:179]// 00000002A6D0: D3D700B0 0EC2ED66
	v_mfma_i32_16x16x32_i8 v[176:179], a[104:105], v[120:121], v[176:179]// 00000002A6D8: D3D700B0 0EC2F168
	buffer_load_dwordx4 a[84:87], v31, s[20:23], 0 offen offset:1024// 00000002A6E0: E05C1400 8085541F
	v_mfma_i32_16x16x32_i8 v[176:179], a[106:107], v[122:123], v[176:179]// 00000002A6E8: D3D700B0 0EC2F56A
	v_mfma_i32_16x16x32_i8 v[176:179], a[108:109], v[124:125], v[176:179]// 00000002A6F0: D3D700B0 0EC2F96C
	v_mfma_i32_16x16x32_i8 v[176:179], a[110:111], v[126:127], v[176:179]// 00000002A6F8: D3D700B0 0EC2FD6E
	v_mfma_i32_16x16x32_i8 v[180:183], a[112:113], v[112:113], 0// 00000002A700: D3D700B4 0A02E170
	buffer_load_dwordx4 a[88:91], v32, s[20:23], 0 offen offset:1024// 00000002A708: E05C1400 80855820
	v_mfma_i32_16x16x32_i8 v[180:183], a[114:115], v[114:115], v[180:183]// 00000002A710: D3D700B4 0ED2E572
	v_mfma_i32_16x16x32_i8 v[180:183], a[116:117], v[116:117], v[180:183]// 00000002A718: D3D700B4 0ED2E974
	v_mfma_i32_16x16x32_i8 v[180:183], a[118:119], v[118:119], v[180:183]// 00000002A720: D3D700B4 0ED2ED76
	v_mfma_i32_16x16x32_i8 v[180:183], a[120:121], v[120:121], v[180:183]// 00000002A728: D3D700B4 0ED2F178
	buffer_load_dwordx4 a[92:95], v33, s[20:23], 0 offen offset:1024// 00000002A730: E05C1400 80855C21
	v_mfma_i32_16x16x32_i8 v[180:183], a[122:123], v[122:123], v[180:183]// 00000002A738: D3D700B4 0ED2F57A
	v_mfma_i32_16x16x32_i8 v[180:183], a[124:125], v[124:125], v[180:183]// 00000002A740: D3D700B4 0ED2F97C
	s_lshr_b32 s57, s70, 4                                     // 00000002A748: 8F398446
	s_add_u32 s57, 48, s57                                     // 00000002A74C: 803939B0
	v_mfma_i32_16x16x32_i8 v[180:183], a[126:127], v[126:127], v[180:183]// 00000002A750: D3D700B4 0ED2FD7E
	s_cmp_ge_u32 s57, s73                                      // 00000002A758: BF094939
	s_cselect_b32 s56, 0, s56                                  // 00000002A75C: 85383880
	v_mfma_i32_16x16x32_i8 v[184:187], a[96:97], v[128:129], 0 // 00000002A760: D3D700B8 0A030160
	v_mfma_i32_16x16x32_i8 v[184:187], a[98:99], v[130:131], v[184:187]// 00000002A768: D3D700B8 0EE30562
	v_mfma_i32_16x16x32_i8 v[184:187], a[100:101], v[132:133], v[184:187]// 00000002A770: D3D700B8 0EE30964
	v_mfma_i32_16x16x32_i8 v[184:187], a[102:103], v[134:135], v[184:187]// 00000002A778: D3D700B8 0EE30D66
	v_mfma_i32_16x16x32_i8 v[184:187], a[104:105], v[136:137], v[184:187]// 00000002A780: D3D700B8 0EE31168
	v_mfma_i32_16x16x32_i8 v[184:187], a[106:107], v[138:139], v[184:187]// 00000002A788: D3D700B8 0EE3156A
	v_mfma_i32_16x16x32_i8 v[184:187], a[108:109], v[140:141], v[184:187]// 00000002A790: D3D700B8 0EE3196C
	v_mfma_i32_16x16x32_i8 v[184:187], a[110:111], v[142:143], v[184:187]// 00000002A798: D3D700B8 0EE31D6E
	v_mfma_i32_16x16x32_i8 v[188:191], a[112:113], v[128:129], 0// 00000002A7A0: D3D700BC 0A030170
	v_mfma_i32_16x16x32_i8 v[188:191], a[114:115], v[130:131], v[188:191]// 00000002A7A8: D3D700BC 0EF30572
	v_mfma_i32_16x16x32_i8 v[188:191], a[116:117], v[132:133], v[188:191]// 00000002A7B0: D3D700BC 0EF30974
	v_mfma_i32_16x16x32_i8 v[188:191], a[118:119], v[134:135], v[188:191]// 00000002A7B8: D3D700BC 0EF30D76
	v_mfma_i32_16x16x32_i8 v[188:191], a[120:121], v[136:137], v[188:191]// 00000002A7C0: D3D700BC 0EF31178
	v_mfma_i32_16x16x32_i8 v[188:191], a[122:123], v[138:139], v[188:191]// 00000002A7C8: D3D700BC 0EF3157A
	v_mfma_i32_16x16x32_i8 v[188:191], a[124:125], v[140:141], v[188:191]// 00000002A7D0: D3D700BC 0EF3197C
	v_mfma_i32_16x16x32_i8 v[188:191], a[126:127], v[142:143], v[188:191]// 00000002A7D8: D3D700BC 0EF31D7E
	v_mfma_i32_16x16x32_i8 v[192:195], a[96:97], v[144:145], 0 // 00000002A7E0: D3D700C0 0A032160
	v_mfma_i32_16x16x32_i8 v[192:195], a[98:99], v[146:147], v[192:195]// 00000002A7E8: D3D700C0 0F032562
	v_mfma_i32_16x16x32_i8 v[192:195], a[100:101], v[148:149], v[192:195]// 00000002A7F0: D3D700C0 0F032964
	v_mfma_i32_16x16x32_i8 v[192:195], a[102:103], v[150:151], v[192:195]// 00000002A7F8: D3D700C0 0F032D66
	v_mfma_i32_16x16x32_i8 v[192:195], a[104:105], v[152:153], v[192:195]// 00000002A800: D3D700C0 0F033168
	v_mfma_i32_16x16x32_i8 v[192:195], a[106:107], v[154:155], v[192:195]// 00000002A808: D3D700C0 0F03356A
	v_mfma_i32_16x16x32_i8 v[192:195], a[108:109], v[156:157], v[192:195]// 00000002A810: D3D700C0 0F03396C
	v_mfma_i32_16x16x32_i8 v[192:195], a[110:111], v[158:159], v[192:195]// 00000002A818: D3D700C0 0F033D6E
	v_mfma_i32_16x16x32_i8 v[196:199], a[112:113], v[144:145], 0// 00000002A820: D3D700C4 0A032170
	v_mfma_i32_16x16x32_i8 v[196:199], a[114:115], v[146:147], v[196:199]// 00000002A828: D3D700C4 0F132572
	v_mfma_i32_16x16x32_i8 v[196:199], a[116:117], v[148:149], v[196:199]// 00000002A830: D3D700C4 0F132974
	v_mfma_i32_16x16x32_i8 v[196:199], a[118:119], v[150:151], v[196:199]// 00000002A838: D3D700C4 0F132D76
	v_mfma_i32_16x16x32_i8 v[196:199], a[120:121], v[152:153], v[196:199]// 00000002A840: D3D700C4 0F133178
	v_mfma_i32_16x16x32_i8 v[196:199], a[122:123], v[154:155], v[196:199]// 00000002A848: D3D700C4 0F13357A
	v_mfma_i32_16x16x32_i8 v[196:199], a[124:125], v[156:157], v[196:199]// 00000002A850: D3D700C4 0F13397C
	v_mfma_i32_16x16x32_i8 v[196:199], a[126:127], v[158:159], v[196:199]// 00000002A858: D3D700C4 0F133D7E
	v_mfma_i32_16x16x32_i8 v[200:203], a[96:97], v[160:161], 0 // 00000002A860: D3D700C8 0A034160
	v_mfma_i32_16x16x32_i8 v[200:203], a[98:99], v[162:163], v[200:203]// 00000002A868: D3D700C8 0F234562
	v_mfma_i32_16x16x32_i8 v[200:203], a[100:101], v[164:165], v[200:203]// 00000002A870: D3D700C8 0F234964
	v_mfma_i32_16x16x32_i8 v[200:203], a[102:103], v[166:167], v[200:203]// 00000002A878: D3D700C8 0F234D66
	v_mfma_i32_16x16x32_i8 v[200:203], a[104:105], v[168:169], v[200:203]// 00000002A880: D3D700C8 0F235168
	v_mfma_i32_16x16x32_i8 v[200:203], a[106:107], v[170:171], v[200:203]// 00000002A888: D3D700C8 0F23556A
	v_mfma_i32_16x16x32_i8 v[200:203], a[108:109], v[172:173], v[200:203]// 00000002A890: D3D700C8 0F23596C
	v_mfma_i32_16x16x32_i8 v[200:203], a[110:111], v[174:175], v[200:203]// 00000002A898: D3D700C8 0F235D6E
	v_mfma_i32_16x16x32_i8 v[204:207], a[112:113], v[160:161], 0// 00000002A8A0: D3D700CC 0A034170
	v_mfma_i32_16x16x32_i8 v[204:207], a[114:115], v[162:163], v[204:207]// 00000002A8A8: D3D700CC 0F334572
	v_mfma_i32_16x16x32_i8 v[204:207], a[116:117], v[164:165], v[204:207]// 00000002A8B0: D3D700CC 0F334974
	v_mfma_i32_16x16x32_i8 v[204:207], a[118:119], v[166:167], v[204:207]// 00000002A8B8: D3D700CC 0F334D76
	v_mfma_i32_16x16x32_i8 v[204:207], a[120:121], v[168:169], v[204:207]// 00000002A8C0: D3D700CC 0F335178
	v_mfma_i32_16x16x32_i8 v[204:207], a[122:123], v[170:171], v[204:207]// 00000002A8C8: D3D700CC 0F33557A
	v_mfma_i32_16x16x32_i8 v[204:207], a[124:125], v[172:173], v[204:207]// 00000002A8D0: D3D700CC 0F33597C
	v_mfma_i32_16x16x32_i8 v[204:207], a[126:127], v[174:175], v[204:207]// 00000002A8D8: D3D700CC 0F335D7E
	v_add_u32_e32 v1, s56, v1                                  // 00000002A8E0: 68020238
	s_addk_i32 s70, 0x100                                      // 00000002A8E4: B7460100
	s_cmp_lt_i32 s70, s71                                      // 00000002A8E8: BF044746
	s_cbranch_scc0 label_8C43                                  // 00000002A8EC: BF84EA87
	s_branch label_8C46                                        // 00000002A8F0: BF82EA89

000000000002a8f4 <label_A1BD>:
	s_lshr_b32 s60, s71, 4                                     // 00000002A8F4: 8F3C8447
	s_cmp_eq_i32 s60, s73                                      // 00000002A8F8: BF00493C
	s_cbranch_scc1 label_BA22                                  // 00000002A8FC: BF851862
	s_lshr_b32 s60, s71, 8                                     // 00000002A900: 8F3C8847
	s_and_b32 s60, s60, 1                                      // 00000002A904: 863C813C
	s_cmp_eq_i32 s60, 1                                        // 00000002A908: BF00813C
	s_cbranch_scc1 label_ADF3                                  // 00000002A90C: BF850C2F
	s_waitcnt vmcnt(8) lgkmcnt(0)                              // 00000002A910: BF8C0078
	s_barrier                                                  // 00000002A914: BF8A0000
	v_mfma_i32_16x16x32_i8 v[112:115], a[0:1], v[80:81], 0     // 00000002A918: D3D70070 0A02A100
	v_mfma_i32_16x16x32_i8 v[112:115], a[2:3], v[82:83], v[112:115]// 00000002A920: D3D70070 0DC2A502
	v_mfma_i32_16x16x32_i8 v[112:115], a[4:5], v[84:85], v[112:115]// 00000002A928: D3D70070 0DC2A904
	v_mfma_i32_16x16x32_i8 v[112:115], a[6:7], v[86:87], v[112:115]// 00000002A930: D3D70070 0DC2AD06
	v_mfma_i32_16x16x32_i8 v[116:119], a[8:9], v[80:81], 0     // 00000002A938: D3D70074 0A02A108
	v_mfma_i32_16x16x32_i8 v[116:119], a[10:11], v[82:83], v[116:119]// 00000002A940: D3D70074 0DD2A50A
	v_mfma_i32_16x16x32_i8 v[116:119], a[12:13], v[84:85], v[116:119]// 00000002A948: D3D70074 0DD2A90C
	v_mfma_i32_16x16x32_i8 v[116:119], a[14:15], v[86:87], v[116:119]// 00000002A950: D3D70074 0DD2AD0E
	v_mfma_i32_16x16x32_i8 v[120:123], a[16:17], v[80:81], 0   // 00000002A958: D3D70078 0A02A110
	v_mfma_i32_16x16x32_i8 v[120:123], a[18:19], v[82:83], v[120:123]// 00000002A960: D3D70078 0DE2A512
	v_mfma_i32_16x16x32_i8 v[120:123], a[20:21], v[84:85], v[120:123]// 00000002A968: D3D70078 0DE2A914
	v_mfma_i32_16x16x32_i8 v[120:123], a[22:23], v[86:87], v[120:123]// 00000002A970: D3D70078 0DE2AD16
	v_mfma_i32_16x16x32_i8 v[124:127], a[24:25], v[80:81], 0   // 00000002A978: D3D7007C 0A02A118
	v_mfma_i32_16x16x32_i8 v[124:127], a[26:27], v[82:83], v[124:127]// 00000002A980: D3D7007C 0DF2A51A
	v_mfma_i32_16x16x32_i8 v[124:127], a[28:29], v[84:85], v[124:127]// 00000002A988: D3D7007C 0DF2A91C
	v_mfma_i32_16x16x32_i8 v[124:127], a[30:31], v[86:87], v[124:127]// 00000002A990: D3D7007C 0DF2AD1E
	v_mfma_i32_16x16x32_i8 v[128:131], a[0:1], v[88:89], 0     // 00000002A998: D3D70080 0A02B100
	v_mfma_i32_16x16x32_i8 v[128:131], a[2:3], v[90:91], v[128:131]// 00000002A9A0: D3D70080 0E02B502
	v_mfma_i32_16x16x32_i8 v[128:131], a[4:5], v[92:93], v[128:131]// 00000002A9A8: D3D70080 0E02B904
	v_mfma_i32_16x16x32_i8 v[128:131], a[6:7], v[94:95], v[128:131]// 00000002A9B0: D3D70080 0E02BD06
	v_mfma_i32_16x16x32_i8 v[132:135], a[8:9], v[88:89], 0     // 00000002A9B8: D3D70084 0A02B108
	v_mfma_i32_16x16x32_i8 v[132:135], a[10:11], v[90:91], v[132:135]// 00000002A9C0: D3D70084 0E12B50A
	v_mfma_i32_16x16x32_i8 v[132:135], a[12:13], v[92:93], v[132:135]// 00000002A9C8: D3D70084 0E12B90C
	v_mfma_i32_16x16x32_i8 v[132:135], a[14:15], v[94:95], v[132:135]// 00000002A9D0: D3D70084 0E12BD0E
	v_mfma_i32_16x16x32_i8 v[136:139], a[16:17], v[88:89], 0   // 00000002A9D8: D3D70088 0A02B110
	v_mfma_i32_16x16x32_i8 v[136:139], a[18:19], v[90:91], v[136:139]// 00000002A9E0: D3D70088 0E22B512
	v_mfma_i32_16x16x32_i8 v[136:139], a[20:21], v[92:93], v[136:139]// 00000002A9E8: D3D70088 0E22B914
	v_mfma_i32_16x16x32_i8 v[136:139], a[22:23], v[94:95], v[136:139]// 00000002A9F0: D3D70088 0E22BD16
	v_mfma_i32_16x16x32_i8 v[140:143], a[24:25], v[88:89], 0   // 00000002A9F8: D3D7008C 0A02B118
	v_mfma_i32_16x16x32_i8 v[140:143], a[26:27], v[90:91], v[140:143]// 00000002AA00: D3D7008C 0E32B51A
	v_mfma_i32_16x16x32_i8 v[140:143], a[28:29], v[92:93], v[140:143]// 00000002AA08: D3D7008C 0E32B91C
	v_mfma_i32_16x16x32_i8 v[140:143], a[30:31], v[94:95], v[140:143]// 00000002AA10: D3D7008C 0E32BD1E
	v_mfma_i32_16x16x32_i8 v[144:147], a[0:1], v[96:97], 0     // 00000002AA18: D3D70090 0A02C100
	v_mfma_i32_16x16x32_i8 v[144:147], a[2:3], v[98:99], v[144:147]// 00000002AA20: D3D70090 0E42C502
	v_mfma_i32_16x16x32_i8 v[144:147], a[4:5], v[100:101], v[144:147]// 00000002AA28: D3D70090 0E42C904
	v_mfma_i32_16x16x32_i8 v[144:147], a[6:7], v[102:103], v[144:147]// 00000002AA30: D3D70090 0E42CD06
	v_mfma_i32_16x16x32_i8 v[148:151], a[8:9], v[96:97], 0     // 00000002AA38: D3D70094 0A02C108
	v_mfma_i32_16x16x32_i8 v[148:151], a[10:11], v[98:99], v[148:151]// 00000002AA40: D3D70094 0E52C50A
	v_mfma_i32_16x16x32_i8 v[148:151], a[12:13], v[100:101], v[148:151]// 00000002AA48: D3D70094 0E52C90C
	v_mfma_i32_16x16x32_i8 v[148:151], a[14:15], v[102:103], v[148:151]// 00000002AA50: D3D70094 0E52CD0E
	v_mfma_i32_16x16x32_i8 v[152:155], a[16:17], v[96:97], 0   // 00000002AA58: D3D70098 0A02C110
	v_mfma_i32_16x16x32_i8 v[152:155], a[18:19], v[98:99], v[152:155]// 00000002AA60: D3D70098 0E62C512
	v_mfma_i32_16x16x32_i8 v[152:155], a[20:21], v[100:101], v[152:155]// 00000002AA68: D3D70098 0E62C914
	v_mfma_i32_16x16x32_i8 v[152:155], a[22:23], v[102:103], v[152:155]// 00000002AA70: D3D70098 0E62CD16
	v_mfma_i32_16x16x32_i8 v[156:159], a[24:25], v[96:97], 0   // 00000002AA78: D3D7009C 0A02C118
	v_mfma_i32_16x16x32_i8 v[156:159], a[26:27], v[98:99], v[156:159]// 00000002AA80: D3D7009C 0E72C51A
	v_mfma_i32_16x16x32_i8 v[156:159], a[28:29], v[100:101], v[156:159]// 00000002AA88: D3D7009C 0E72C91C
	v_mfma_i32_16x16x32_i8 v[156:159], a[30:31], v[102:103], v[156:159]// 00000002AA90: D3D7009C 0E72CD1E
	v_mfma_i32_16x16x32_i8 v[160:163], a[0:1], v[104:105], 0   // 00000002AA98: D3D700A0 0A02D100
	v_mfma_i32_16x16x32_i8 v[160:163], a[2:3], v[106:107], v[160:163]// 00000002AAA0: D3D700A0 0E82D502
	v_mfma_i32_16x16x32_i8 v[160:163], a[4:5], v[108:109], v[160:163]// 00000002AAA8: D3D700A0 0E82D904
	v_mfma_i32_16x16x32_i8 v[160:163], a[6:7], v[110:111], v[160:163]// 00000002AAB0: D3D700A0 0E82DD06
	v_mfma_i32_16x16x32_i8 v[164:167], a[8:9], v[104:105], 0   // 00000002AAB8: D3D700A4 0A02D108
	v_mfma_i32_16x16x32_i8 v[164:167], a[10:11], v[106:107], v[164:167]// 00000002AAC0: D3D700A4 0E92D50A
	v_mfma_i32_16x16x32_i8 v[164:167], a[12:13], v[108:109], v[164:167]// 00000002AAC8: D3D700A4 0E92D90C
	v_mfma_i32_16x16x32_i8 v[164:167], a[14:15], v[110:111], v[164:167]// 00000002AAD0: D3D700A4 0E92DD0E
	v_mfma_i32_16x16x32_i8 v[168:171], a[16:17], v[104:105], 0 // 00000002AAD8: D3D700A8 0A02D110
	v_mfma_i32_16x16x32_i8 v[168:171], a[18:19], v[106:107], v[168:171]// 00000002AAE0: D3D700A8 0EA2D512
	v_mfma_i32_16x16x32_i8 v[168:171], a[20:21], v[108:109], v[168:171]// 00000002AAE8: D3D700A8 0EA2D914
	v_mfma_i32_16x16x32_i8 v[168:171], a[22:23], v[110:111], v[168:171]// 00000002AAF0: D3D700A8 0EA2DD16
	v_mfma_i32_16x16x32_i8 v[172:175], a[24:25], v[104:105], 0 // 00000002AAF8: D3D700AC 0A02D118
	v_mfma_i32_16x16x32_i8 v[172:175], a[26:27], v[106:107], v[172:175]// 00000002AB00: D3D700AC 0EB2D51A
	v_mfma_i32_16x16x32_i8 v[172:175], a[28:29], v[108:109], v[172:175]// 00000002AB08: D3D700AC 0EB2D91C
	v_mfma_i32_16x16x32_i8 v[172:175], a[30:31], v[110:111], v[172:175]// 00000002AB10: D3D700AC 0EB2DD1E
	v_mov_b32_dpp v64, v42 row_shr:4 row_mask:0xf bank_mask:0xf// 00000002AB18: 7E8002FA FF01142A
	v_mov_b32_dpp v65, v42 row_shl:4 row_mask:0xf bank_mask:0xf// 00000002AB20: 7E8202FA FF01042A
	v_cndmask_b32_e64 v248, v42, v64, s[44:45]                 // 00000002AB28: D10000F8 00B2812A
	v_cndmask_b32_e64 v249, v65, v42, s[44:45]                 // 00000002AB30: D10000F9 00B25541
	v_mov_b32_dpp v64, v248 row_shr:8 row_mask:0xf bank_mask:0xf// 00000002AB38: 7E8002FA FF0118F8
	v_mov_b32_dpp v65, v248 row_shl:8 row_mask:0xf bank_mask:0xf// 00000002AB40: 7E8202FA FF0108F8
	v_mov_b32_dpp v66, v249 row_shr:8 row_mask:0xf bank_mask:0xf// 00000002AB48: 7E8402FA FF0118F9
	v_mov_b32_dpp v67, v249 row_shl:8 row_mask:0xf bank_mask:0xf// 00000002AB50: 7E8602FA FF0108F9
	v_mov_b32_e32 v68, v248                                    // 00000002AB58: 7E8803F8
	v_mov_b32_e32 v69, v249                                    // 00000002AB5C: 7E8A03F9
	v_cndmask_b32_e64 v248, v68, v64, s[42:43]                 // 00000002AB60: D10000F8 00AA8144
	v_cndmask_b32_e64 v250, v68, v65, s[78:79]                 // 00000002AB68: D10000FA 013A8344
	v_cndmask_b32_e64 v249, v69, v66, s[42:43]                 // 00000002AB70: D10000F9 00AA8545
	v_cndmask_b32_e64 v251, v69, v67, s[78:79]                 // 00000002AB78: D10000FB 013A8745
	v_mov_b32_dpp v64, v57 row_shr:4 row_mask:0xf bank_mask:0xf// 00000002AB80: 7E8002FA FF011439
	v_mov_b32_dpp v65, v57 row_shl:4 row_mask:0xf bank_mask:0xf// 00000002AB88: 7E8202FA FF010439
	v_cndmask_b32_e64 v252, v57, v64, s[44:45]                 // 00000002AB90: D10000FC 00B28139
	v_cndmask_b32_e64 v253, v65, v57, s[44:45]                 // 00000002AB98: D10000FD 00B27341
	v_mov_b32_dpp v64, v252 row_shr:8 row_mask:0xf bank_mask:0xf// 00000002ABA0: 7E8002FA FF0118FC
	v_mov_b32_dpp v65, v252 row_shl:8 row_mask:0xf bank_mask:0xf// 00000002ABA8: 7E8202FA FF0108FC
	v_mov_b32_dpp v66, v253 row_shr:8 row_mask:0xf bank_mask:0xf// 00000002ABB0: 7E8402FA FF0118FD
	v_mov_b32_dpp v67, v253 row_shl:8 row_mask:0xf bank_mask:0xf// 00000002ABB8: 7E8602FA FF0108FD
	v_mov_b32_e32 v68, v252                                    // 00000002ABC0: 7E8803FC
	v_mov_b32_e32 v69, v253                                    // 00000002ABC4: 7E8A03FD
	v_cndmask_b32_e64 v252, v68, v64, s[42:43]                 // 00000002ABC8: D10000FC 00AA8144
	v_cndmask_b32_e64 v254, v68, v65, s[78:79]                 // 00000002ABD0: D10000FE 013A8344
	v_cndmask_b32_e64 v253, v69, v66, s[42:43]                 // 00000002ABD8: D10000FD 00AA8545
	v_cndmask_b32_e64 v255, v69, v67, s[78:79]                 // 00000002ABE0: D10000FF 013A8745
	v_cvt_f32_i32_e32 v112, v112                               // 00000002ABE8: 7EE00B70
	v_cvt_f32_i32_e32 v113, v113                               // 00000002ABEC: 7EE20B71
	v_cvt_f32_i32_e32 v114, v114                               // 00000002ABF0: 7EE40B72
	v_cvt_f32_i32_e32 v115, v115                               // 00000002ABF4: 7EE60B73
	v_cvt_f32_i32_e32 v116, v116                               // 00000002ABF8: 7EE80B74
	v_cvt_f32_i32_e32 v117, v117                               // 00000002ABFC: 7EEA0B75
	v_cvt_f32_i32_e32 v118, v118                               // 00000002AC00: 7EEC0B76
	v_cvt_f32_i32_e32 v119, v119                               // 00000002AC04: 7EEE0B77
	v_cvt_f32_i32_e32 v120, v120                               // 00000002AC08: 7EF00B78
	v_cvt_f32_i32_e32 v121, v121                               // 00000002AC0C: 7EF20B79
	v_cvt_f32_i32_e32 v122, v122                               // 00000002AC10: 7EF40B7A
	v_cvt_f32_i32_e32 v123, v123                               // 00000002AC14: 7EF60B7B
	v_cvt_f32_i32_e32 v124, v124                               // 00000002AC18: 7EF80B7C
	v_cvt_f32_i32_e32 v125, v125                               // 00000002AC1C: 7EFA0B7D
	v_cvt_f32_i32_e32 v126, v126                               // 00000002AC20: 7EFC0B7E
	v_cvt_f32_i32_e32 v127, v127                               // 00000002AC24: 7EFE0B7F
	v_mul_f32_e32 v112, v18, v112                              // 00000002AC28: 0AE0E112
	v_mul_f32_e32 v113, v18, v113                              // 00000002AC2C: 0AE2E312
	v_mul_f32_e32 v114, v18, v114                              // 00000002AC30: 0AE4E512
	v_mul_f32_e32 v115, v18, v115                              // 00000002AC34: 0AE6E712
	v_mul_f32_e32 v116, v18, v116                              // 00000002AC38: 0AE8E912
	v_mul_f32_e32 v117, v18, v117                              // 00000002AC3C: 0AEAEB12
	v_mul_f32_e32 v118, v18, v118                              // 00000002AC40: 0AECED12
	v_mul_f32_e32 v119, v18, v119                              // 00000002AC44: 0AEEEF12
	v_mul_f32_e32 v120, v18, v120                              // 00000002AC48: 0AF0F112
	v_mul_f32_e32 v121, v18, v121                              // 00000002AC4C: 0AF2F312
	v_mul_f32_e32 v122, v18, v122                              // 00000002AC50: 0AF4F512
	v_mul_f32_e32 v123, v18, v123                              // 00000002AC54: 0AF6F712
	v_mul_f32_e32 v124, v18, v124                              // 00000002AC58: 0AF8F912
	v_mul_f32_e32 v125, v18, v125                              // 00000002AC5C: 0AFAFB12
	v_mul_f32_e32 v126, v18, v126                              // 00000002AC60: 0AFCFD12
	v_mul_f32_e32 v127, v18, v127                              // 00000002AC64: 0AFEFF12
	v_mul_f32_dpp v112, v248, v112 quad_perm:[0,0,0,0] row_mask:0xf bank_mask:0xf// 00000002AC68: 0AE0E0FA FF0000F8
	v_mul_f32_dpp v113, v248, v113 quad_perm:[1,1,1,1] row_mask:0xf bank_mask:0xf// 00000002AC70: 0AE2E2FA FF0055F8
	v_mul_f32_dpp v114, v248, v114 quad_perm:[2,2,2,2] row_mask:0xf bank_mask:0xf// 00000002AC78: 0AE4E4FA FF00AAF8
	v_mul_f32_dpp v115, v248, v115 quad_perm:[3,3,3,3] row_mask:0xf bank_mask:0xf// 00000002AC80: 0AE6E6FA FF00FFF8
	v_mul_f32_dpp v116, v249, v116 quad_perm:[0,0,0,0] row_mask:0xf bank_mask:0xf// 00000002AC88: 0AE8E8FA FF0000F9
	v_mul_f32_dpp v117, v249, v117 quad_perm:[1,1,1,1] row_mask:0xf bank_mask:0xf// 00000002AC90: 0AEAEAFA FF0055F9
	v_mul_f32_dpp v118, v249, v118 quad_perm:[2,2,2,2] row_mask:0xf bank_mask:0xf// 00000002AC98: 0AECECFA FF00AAF9
	v_mul_f32_dpp v119, v249, v119 quad_perm:[3,3,3,3] row_mask:0xf bank_mask:0xf// 00000002ACA0: 0AEEEEFA FF00FFF9
	v_mul_f32_dpp v120, v250, v120 quad_perm:[0,0,0,0] row_mask:0xf bank_mask:0xf// 00000002ACA8: 0AF0F0FA FF0000FA
	v_mul_f32_dpp v121, v250, v121 quad_perm:[1,1,1,1] row_mask:0xf bank_mask:0xf// 00000002ACB0: 0AF2F2FA FF0055FA
	v_mul_f32_dpp v122, v250, v122 quad_perm:[2,2,2,2] row_mask:0xf bank_mask:0xf// 00000002ACB8: 0AF4F4FA FF00AAFA
	v_mul_f32_dpp v123, v250, v123 quad_perm:[3,3,3,3] row_mask:0xf bank_mask:0xf// 00000002ACC0: 0AF6F6FA FF00FFFA
	v_mul_f32_dpp v124, v251, v124 quad_perm:[0,0,0,0] row_mask:0xf bank_mask:0xf// 00000002ACC8: 0AF8F8FA FF0000FB
	v_mul_f32_dpp v125, v251, v125 quad_perm:[1,1,1,1] row_mask:0xf bank_mask:0xf// 00000002ACD0: 0AFAFAFA FF0055FB
	v_mul_f32_dpp v126, v251, v126 quad_perm:[2,2,2,2] row_mask:0xf bank_mask:0xf// 00000002ACD8: 0AFCFCFA FF00AAFB
	v_mul_f32_dpp v127, v251, v127 quad_perm:[3,3,3,3] row_mask:0xf bank_mask:0xf// 00000002ACE0: 0AFEFEFA FF00FFFB
	s_cmp_le_i32 s90, s89                                      // 00000002ACE8: BF05595A
	s_cbranch_scc1 label_A32D                                  // 00000002ACEC: BF850071
	v_mov_b32_e32 v66, 0xff800000                              // 00000002ACF0: 7E8402FF FF800000
	s_mov_b32 s60, s90                                         // 00000002ACF8: BEBC005A
	s_add_u32 s61, s89, 0xff                                   // 00000002ACFC: 803DFF59 000000FF
	v_mov_b32_e32 v64, s61                                     // 00000002AD04: 7E80023D
	v_lshrrev_b32_e32 v240, 4, v0                              // 00000002AD08: 21E00084
	v_mul_i32_i24_e32 v240, 4, v240                            // 00000002AD0C: 0DE1E084
	v_add_u32_e32 v240, s60, v240                              // 00000002AD10: 69E1E03C
	s_mov_b32 s61, 0                                           // 00000002AD14: BEBD0080
	s_mul_i32 s60, 16, s7                                      // 00000002AD18: 923C0790
	v_sub_u32_e64 v240, v240, s61                              // 00000002AD1C: D13500F0 00007BF0
	v_add_u32_e32 v240, s60, v240                              // 00000002AD24: 69E1E03C
	v_add_u32_e32 v241, 1, v240                                // 00000002AD28: 69E3E081
	v_add_u32_e32 v242, 2, v240                                // 00000002AD2C: 69E5E082
	v_add_u32_e32 v243, 3, v240                                // 00000002AD30: 69E7E083
	v_cmp_le_u32_e64 s[40:41], v240, v64                       // 00000002AD34: D0CB0028 000281F0
	v_add_u32_e32 v240, 64, v240                               // 00000002AD3C: 69E1E0C0
	s_nop 0                                                    // 00000002AD40: BF800000
	v_cndmask_b32_e64 v112, v66, v112, s[40:41]                // 00000002AD44: D1000070 00A2E142
	v_cmp_le_u32_e64 s[40:41], v241, v64                       // 00000002AD4C: D0CB0028 000281F1
	v_add_u32_e32 v241, 64, v241                               // 00000002AD54: 69E3E2C0
	s_nop 0                                                    // 00000002AD58: BF800000
	v_cndmask_b32_e64 v113, v66, v113, s[40:41]                // 00000002AD5C: D1000071 00A2E342
	v_cmp_le_u32_e64 s[40:41], v242, v64                       // 00000002AD64: D0CB0028 000281F2
	v_add_u32_e32 v242, 64, v242                               // 00000002AD6C: 69E5E4C0
	s_nop 0                                                    // 00000002AD70: BF800000
	v_cndmask_b32_e64 v114, v66, v114, s[40:41]                // 00000002AD74: D1000072 00A2E542
	v_cmp_le_u32_e64 s[40:41], v243, v64                       // 00000002AD7C: D0CB0028 000281F3
	v_add_u32_e32 v243, 64, v243                               // 00000002AD84: 69E7E6C0
	s_nop 0                                                    // 00000002AD88: BF800000
	v_cndmask_b32_e64 v115, v66, v115, s[40:41]                // 00000002AD8C: D1000073 00A2E742
	v_cmp_le_u32_e64 s[40:41], v240, v64                       // 00000002AD94: D0CB0028 000281F0
	v_add_u32_e32 v240, 64, v240                               // 00000002AD9C: 69E1E0C0
	s_nop 0                                                    // 00000002ADA0: BF800000
	v_cndmask_b32_e64 v116, v66, v116, s[40:41]                // 00000002ADA4: D1000074 00A2E942
	v_cmp_le_u32_e64 s[40:41], v241, v64                       // 00000002ADAC: D0CB0028 000281F1
	v_add_u32_e32 v241, 64, v241                               // 00000002ADB4: 69E3E2C0
	s_nop 0                                                    // 00000002ADB8: BF800000
	v_cndmask_b32_e64 v117, v66, v117, s[40:41]                // 00000002ADBC: D1000075 00A2EB42
	v_cmp_le_u32_e64 s[40:41], v242, v64                       // 00000002ADC4: D0CB0028 000281F2
	v_add_u32_e32 v242, 64, v242                               // 00000002ADCC: 69E5E4C0
	s_nop 0                                                    // 00000002ADD0: BF800000
	v_cndmask_b32_e64 v118, v66, v118, s[40:41]                // 00000002ADD4: D1000076 00A2ED42
	v_cmp_le_u32_e64 s[40:41], v243, v64                       // 00000002ADDC: D0CB0028 000281F3
	v_add_u32_e32 v243, 64, v243                               // 00000002ADE4: 69E7E6C0
	s_nop 0                                                    // 00000002ADE8: BF800000
	v_cndmask_b32_e64 v119, v66, v119, s[40:41]                // 00000002ADEC: D1000077 00A2EF42
	v_cmp_le_u32_e64 s[40:41], v240, v64                       // 00000002ADF4: D0CB0028 000281F0
	v_add_u32_e32 v240, 64, v240                               // 00000002ADFC: 69E1E0C0
	s_nop 0                                                    // 00000002AE00: BF800000
	v_cndmask_b32_e64 v120, v66, v120, s[40:41]                // 00000002AE04: D1000078 00A2F142
	v_cmp_le_u32_e64 s[40:41], v241, v64                       // 00000002AE0C: D0CB0028 000281F1
	v_add_u32_e32 v241, 64, v241                               // 00000002AE14: 69E3E2C0
	s_nop 0                                                    // 00000002AE18: BF800000
	v_cndmask_b32_e64 v121, v66, v121, s[40:41]                // 00000002AE1C: D1000079 00A2F342
	v_cmp_le_u32_e64 s[40:41], v242, v64                       // 00000002AE24: D0CB0028 000281F2
	v_add_u32_e32 v242, 64, v242                               // 00000002AE2C: 69E5E4C0
	s_nop 0                                                    // 00000002AE30: BF800000
	v_cndmask_b32_e64 v122, v66, v122, s[40:41]                // 00000002AE34: D100007A 00A2F542
	v_cmp_le_u32_e64 s[40:41], v243, v64                       // 00000002AE3C: D0CB0028 000281F3
	v_add_u32_e32 v243, 64, v243                               // 00000002AE44: 69E7E6C0
	s_nop 0                                                    // 00000002AE48: BF800000
	v_cndmask_b32_e64 v123, v66, v123, s[40:41]                // 00000002AE4C: D100007B 00A2F742
	v_cmp_le_u32_e64 s[40:41], v240, v64                       // 00000002AE54: D0CB0028 000281F0
	v_add_u32_e32 v240, 64, v240                               // 00000002AE5C: 69E1E0C0
	s_nop 0                                                    // 00000002AE60: BF800000
	v_cndmask_b32_e64 v124, v66, v124, s[40:41]                // 00000002AE64: D100007C 00A2F942
	v_cmp_le_u32_e64 s[40:41], v241, v64                       // 00000002AE6C: D0CB0028 000281F1
	v_add_u32_e32 v241, 64, v241                               // 00000002AE74: 69E3E2C0
	s_nop 0                                                    // 00000002AE78: BF800000
	v_cndmask_b32_e64 v125, v66, v125, s[40:41]                // 00000002AE7C: D100007D 00A2FB42
	v_cmp_le_u32_e64 s[40:41], v242, v64                       // 00000002AE84: D0CB0028 000281F2
	v_add_u32_e32 v242, 64, v242                               // 00000002AE8C: 69E5E4C0
	s_nop 0                                                    // 00000002AE90: BF800000
	v_cndmask_b32_e64 v126, v66, v126, s[40:41]                // 00000002AE94: D100007E 00A2FD42
	v_cmp_le_u32_e64 s[40:41], v243, v64                       // 00000002AE9C: D0CB0028 000281F3
	v_add_u32_e32 v243, 64, v243                               // 00000002AEA4: 69E7E6C0
	s_nop 0                                                    // 00000002AEA8: BF800000
	v_cndmask_b32_e64 v127, v66, v127, s[40:41]                // 00000002AEAC: D100007F 00A2FF42

000000000002aeb4 <label_A32D>:
	s_and_b32 s60, s72, 0xff                                   // 00000002AEB4: 863CFF48 000000FF
	v_mov_b32_e32 v65, s60                                     // 00000002AEBC: 7E82023C
	v_lshrrev_b32_e32 v240, 4, v0                              // 00000002AEC0: 21E00084
	v_mul_i32_i24_e32 v240, 4, v240                            // 00000002AEC4: 0DE1E084
	s_mul_i32 s60, s7, 16                                      // 00000002AEC8: 923C9007
	v_add_u32_e32 v240, s60, v240                              // 00000002AECC: 69E1E03C
	v_add_u32_e32 v241, 1, v240                                // 00000002AED0: 69E3E081
	v_add_u32_e32 v242, 2, v240                                // 00000002AED4: 69E5E082
	v_add_u32_e32 v243, 3, v240                                // 00000002AED8: 69E7E083
	v_mov_b32_e32 v64, 0xff800000                              // 00000002AEDC: 7E8002FF FF800000
	v_cmp_lt_u32_e64 s[40:41], v240, v65                       // 00000002AEE4: D0C90028 000283F0
	v_add_u32_e32 v240, 64, v240                               // 00000002AEEC: 69E1E0C0
	s_nop 0                                                    // 00000002AEF0: BF800000
	v_cndmask_b32_e64 v112, v64, v112, s[40:41]                // 00000002AEF4: D1000070 00A2E140
	v_cmp_lt_u32_e64 s[40:41], v241, v65                       // 00000002AEFC: D0C90028 000283F1
	v_add_u32_e32 v241, 64, v241                               // 00000002AF04: 69E3E2C0
	s_nop 0                                                    // 00000002AF08: BF800000
	v_cndmask_b32_e64 v113, v64, v113, s[40:41]                // 00000002AF0C: D1000071 00A2E340
	v_cmp_lt_u32_e64 s[40:41], v242, v65                       // 00000002AF14: D0C90028 000283F2
	v_add_u32_e32 v242, 64, v242                               // 00000002AF1C: 69E5E4C0
	s_nop 0                                                    // 00000002AF20: BF800000
	v_cndmask_b32_e64 v114, v64, v114, s[40:41]                // 00000002AF24: D1000072 00A2E540
	v_cmp_lt_u32_e64 s[40:41], v243, v65                       // 00000002AF2C: D0C90028 000283F3
	v_add_u32_e32 v243, 64, v243                               // 00000002AF34: 69E7E6C0
	s_nop 0                                                    // 00000002AF38: BF800000
	v_cndmask_b32_e64 v115, v64, v115, s[40:41]                // 00000002AF3C: D1000073 00A2E740
	v_cmp_lt_u32_e64 s[40:41], v240, v65                       // 00000002AF44: D0C90028 000283F0
	v_add_u32_e32 v240, 64, v240                               // 00000002AF4C: 69E1E0C0
	s_nop 0                                                    // 00000002AF50: BF800000
	v_cndmask_b32_e64 v116, v64, v116, s[40:41]                // 00000002AF54: D1000074 00A2E940
	v_cmp_lt_u32_e64 s[40:41], v241, v65                       // 00000002AF5C: D0C90028 000283F1
	v_add_u32_e32 v241, 64, v241                               // 00000002AF64: 69E3E2C0
	s_nop 0                                                    // 00000002AF68: BF800000
	v_cndmask_b32_e64 v117, v64, v117, s[40:41]                // 00000002AF6C: D1000075 00A2EB40
	v_cmp_lt_u32_e64 s[40:41], v242, v65                       // 00000002AF74: D0C90028 000283F2
	v_add_u32_e32 v242, 64, v242                               // 00000002AF7C: 69E5E4C0
	s_nop 0                                                    // 00000002AF80: BF800000
	v_cndmask_b32_e64 v118, v64, v118, s[40:41]                // 00000002AF84: D1000076 00A2ED40
	v_cmp_lt_u32_e64 s[40:41], v243, v65                       // 00000002AF8C: D0C90028 000283F3
	v_add_u32_e32 v243, 64, v243                               // 00000002AF94: 69E7E6C0
	s_nop 0                                                    // 00000002AF98: BF800000
	v_cndmask_b32_e64 v119, v64, v119, s[40:41]                // 00000002AF9C: D1000077 00A2EF40
	v_cmp_lt_u32_e64 s[40:41], v240, v65                       // 00000002AFA4: D0C90028 000283F0
	v_add_u32_e32 v240, 64, v240                               // 00000002AFAC: 69E1E0C0
	s_nop 0                                                    // 00000002AFB0: BF800000
	v_cndmask_b32_e64 v120, v64, v120, s[40:41]                // 00000002AFB4: D1000078 00A2F140
	v_cmp_lt_u32_e64 s[40:41], v241, v65                       // 00000002AFBC: D0C90028 000283F1
	v_add_u32_e32 v241, 64, v241                               // 00000002AFC4: 69E3E2C0
	s_nop 0                                                    // 00000002AFC8: BF800000
	v_cndmask_b32_e64 v121, v64, v121, s[40:41]                // 00000002AFCC: D1000079 00A2F340
	v_cmp_lt_u32_e64 s[40:41], v242, v65                       // 00000002AFD4: D0C90028 000283F2
	v_add_u32_e32 v242, 64, v242                               // 00000002AFDC: 69E5E4C0
	s_nop 0                                                    // 00000002AFE0: BF800000
	v_cndmask_b32_e64 v122, v64, v122, s[40:41]                // 00000002AFE4: D100007A 00A2F540
	v_cmp_lt_u32_e64 s[40:41], v243, v65                       // 00000002AFEC: D0C90028 000283F3
	v_add_u32_e32 v243, 64, v243                               // 00000002AFF4: 69E7E6C0
	s_nop 0                                                    // 00000002AFF8: BF800000
	v_cndmask_b32_e64 v123, v64, v123, s[40:41]                // 00000002AFFC: D100007B 00A2F740
	v_cmp_lt_u32_e64 s[40:41], v240, v65                       // 00000002B004: D0C90028 000283F0
	v_add_u32_e32 v240, 64, v240                               // 00000002B00C: 69E1E0C0
	s_nop 0                                                    // 00000002B010: BF800000
	v_cndmask_b32_e64 v124, v64, v124, s[40:41]                // 00000002B014: D100007C 00A2F940
	v_cmp_lt_u32_e64 s[40:41], v241, v65                       // 00000002B01C: D0C90028 000283F1
	v_add_u32_e32 v241, 64, v241                               // 00000002B024: 69E3E2C0
	s_nop 0                                                    // 00000002B028: BF800000
	v_cndmask_b32_e64 v125, v64, v125, s[40:41]                // 00000002B02C: D100007D 00A2FB40
	v_cmp_lt_u32_e64 s[40:41], v242, v65                       // 00000002B034: D0C90028 000283F2
	v_add_u32_e32 v242, 64, v242                               // 00000002B03C: 69E5E4C0
	s_nop 0                                                    // 00000002B040: BF800000
	v_cndmask_b32_e64 v126, v64, v126, s[40:41]                // 00000002B044: D100007E 00A2FD40
	v_cmp_lt_u32_e64 s[40:41], v243, v65                       // 00000002B04C: D0C90028 000283F3
	v_add_u32_e32 v243, 64, v243                               // 00000002B054: 69E7E6C0
	s_nop 0                                                    // 00000002B058: BF800000
	v_cndmask_b32_e64 v127, v64, v127, s[40:41]                // 00000002B05C: D100007F 00A2FF40
	v_mov_b32_e32 v48, v112                                    // 00000002B064: 7E600370
	v_max3_f32 v48, v112, v113, v48                            // 00000002B068: D1D30030 04C2E370
	v_max3_f32 v48, v114, v115, v48                            // 00000002B070: D1D30030 04C2E772
	v_max3_f32 v48, v116, v117, v48                            // 00000002B078: D1D30030 04C2EB74
	v_max3_f32 v48, v118, v119, v48                            // 00000002B080: D1D30030 04C2EF76
	v_max3_f32 v48, v120, v121, v48                            // 00000002B088: D1D30030 04C2F378
	v_max3_f32 v48, v122, v123, v48                            // 00000002B090: D1D30030 04C2F77A
	v_max3_f32 v48, v124, v125, v48                            // 00000002B098: D1D30030 04C2FB7C
	v_max3_f32 v48, v126, v127, v48                            // 00000002B0A0: D1D30030 04C2FF7E
	ds_write_b32 v8, v48 offset:16896                          // 00000002B0A8: D81A4200 00003008
	v_mul_u32_u24_dpp v64, v17, v54 row_newbcast:1 row_mask:0xf bank_mask:0xf// 00000002B0B0: 10806CFA FF015111
	v_mul_u32_u24_dpp v65, v17, v54 row_newbcast:5 row_mask:0xf bank_mask:0xf// 00000002B0B8: 10826CFA FF015511
	v_mul_u32_u24_dpp v66, v17, v54 row_newbcast:9 row_mask:0xf bank_mask:0xf// 00000002B0C0: 10846CFA FF015911
	v_mul_u32_u24_dpp v67, v17, v54 row_newbcast:13 row_mask:0xf bank_mask:0xf// 00000002B0C8: 10866CFA FF015D11
	v_add_u32_e32 v34, v64, v6                                 // 00000002B0D0: 68440D40
	v_add_u32_e32 v35, v65, v6                                 // 00000002B0D4: 68460D41
	v_add_u32_e32 v36, v66, v6                                 // 00000002B0D8: 68480D42
	v_add_u32_e32 v37, v67, v6                                 // 00000002B0DC: 684A0D43
	v_mul_f32_e32 v208, v49, v208                              // 00000002B0E0: 0BA1A131
	v_mul_f32_e32 v209, v49, v209                              // 00000002B0E4: 0BA3A331
	v_mul_f32_e32 v210, v49, v210                              // 00000002B0E8: 0BA5A531
	v_mul_f32_e32 v211, v49, v211                              // 00000002B0EC: 0BA7A731
	v_mul_f32_e32 v212, v49, v212                              // 00000002B0F0: 0BA9A931
	v_mul_f32_e32 v213, v49, v213                              // 00000002B0F4: 0BABAB31
	v_mul_f32_e32 v214, v49, v214                              // 00000002B0F8: 0BADAD31
	v_mul_f32_e32 v215, v49, v215                              // 00000002B0FC: 0BAFAF31
	s_waitcnt lgkmcnt(0)                                       // 00000002B100: BF8CC07F
	s_barrier                                                  // 00000002B104: BF8A0000
	ds_read_b32 v64, v7 offset:16896                           // 00000002B108: D86C4200 40000007
	ds_read_b32 v65, v7 offset:16960                           // 00000002B110: D86C4240 41000007
	ds_read_b32 v66, v7 offset:17024                           // 00000002B118: D86C4280 42000007
	ds_read_b32 v67, v7 offset:17088                           // 00000002B120: D86C42C0 43000007
	ds_read_b32 v68, v7 offset:17152                           // 00000002B128: D86C4300 44000007
	ds_read_b32 v69, v7 offset:17216                           // 00000002B130: D86C4340 45000007
	ds_read_b32 v70, v7 offset:17280                           // 00000002B138: D86C4380 46000007
	ds_read_b32 v71, v7 offset:17344                           // 00000002B140: D86C43C0 47000007
	ds_read_b32 v72, v7 offset:17408                           // 00000002B148: D86C4400 48000007
	ds_read_b32 v73, v7 offset:17472                           // 00000002B150: D86C4440 49000007
	ds_read_b32 v74, v7 offset:17536                           // 00000002B158: D86C4480 4A000007
	ds_read_b32 v75, v7 offset:17600                           // 00000002B160: D86C44C0 4B000007
	ds_read_b32 v76, v7 offset:17664                           // 00000002B168: D86C4500 4C000007
	ds_read_b32 v77, v7 offset:17728                           // 00000002B170: D86C4540 4D000007
	ds_read_b32 v78, v7 offset:17792                           // 00000002B178: D86C4580 4E000007
	ds_read_b32 v79, v7 offset:17856                           // 00000002B180: D86C45C0 4F000007
	v_cvt_f32_i32_e32 v176, v176                               // 00000002B188: 7F600BB0
	v_cvt_f32_i32_e32 v177, v177                               // 00000002B18C: 7F620BB1
	v_cvt_f32_i32_e32 v178, v178                               // 00000002B190: 7F640BB2
	v_cvt_f32_i32_e32 v179, v179                               // 00000002B194: 7F660BB3
	v_cvt_f32_i32_e32 v180, v180                               // 00000002B198: 7F680BB4
	v_cvt_f32_i32_e32 v181, v181                               // 00000002B19C: 7F6A0BB5
	v_cvt_f32_i32_e32 v182, v182                               // 00000002B1A0: 7F6C0BB6
	v_cvt_f32_i32_e32 v183, v183                               // 00000002B1A4: 7F6E0BB7
	v_mul_f32_e32 v176, v44, v176                              // 00000002B1A8: 0B61612C
	v_mul_f32_e32 v177, v44, v177                              // 00000002B1AC: 0B63632C
	v_mul_f32_e32 v178, v44, v178                              // 00000002B1B0: 0B65652C
	v_mul_f32_e32 v179, v44, v179                              // 00000002B1B4: 0B67672C
	v_mul_f32_e32 v180, v44, v180                              // 00000002B1B8: 0B69692C
	v_mul_f32_e32 v181, v44, v181                              // 00000002B1BC: 0B6B6B2C
	v_mul_f32_e32 v182, v44, v182                              // 00000002B1C0: 0B6D6D2C
	v_mul_f32_e32 v183, v44, v183                              // 00000002B1C4: 0B6F6F2C
	s_waitcnt lgkmcnt(0)                                       // 00000002B1C8: BF8CC07F
	v_max3_f32 v48, v64, v65, v48                              // 00000002B1CC: D1D30030 04C28340
	v_max3_f32 v48, v66, v67, v48                              // 00000002B1D4: D1D30030 04C28742
	v_max3_f32 v48, v68, v69, v48                              // 00000002B1DC: D1D30030 04C28B44
	v_max3_f32 v48, v70, v71, v48                              // 00000002B1E4: D1D30030 04C28F46
	v_max3_f32 v48, v72, v73, v48                              // 00000002B1EC: D1D30030 04C29348
	v_max3_f32 v48, v74, v75, v48                              // 00000002B1F4: D1D30030 04C2974A
	v_max3_f32 v48, v76, v77, v48                              // 00000002B1FC: D1D30030 04C29B4C
	v_max3_f32 v48, v78, v79, v48                              // 00000002B204: D1D30030 04C29F4E
	v_mov_b32_e32 v64, 0xff800000                              // 00000002B20C: 7E8002FF FF800000
	v_cmp_eq_u32_e64 s[40:41], v64, v11                        // 00000002B214: D0CA0028 00021740
	s_nop 1                                                    // 00000002B21C: BF800001
	v_max_f32_e32 v15, v48, v11                                // 00000002B220: 161E1730
	v_mul_f32_e32 v53, s64, v15                                // 00000002B224: 0A6A1E40
	v_fma_f32 v112, v112, s64, -v53                            // 00000002B228: D1CB0070 84D48170
	v_fma_f32 v113, v113, s64, -v53                            // 00000002B230: D1CB0071 84D48171
	v_fma_f32 v114, v114, s64, -v53                            // 00000002B238: D1CB0072 84D48172
	v_fma_f32 v115, v115, s64, -v53                            // 00000002B240: D1CB0073 84D48173
	v_fma_f32 v116, v116, s64, -v53                            // 00000002B248: D1CB0074 84D48174
	v_fma_f32 v117, v117, s64, -v53                            // 00000002B250: D1CB0075 84D48175
	v_fma_f32 v118, v118, s64, -v53                            // 00000002B258: D1CB0076 84D48176
	v_fma_f32 v119, v119, s64, -v53                            // 00000002B260: D1CB0077 84D48177
	v_fma_f32 v120, v120, s64, -v53                            // 00000002B268: D1CB0078 84D48178
	v_fma_f32 v121, v121, s64, -v53                            // 00000002B270: D1CB0079 84D48179
	v_fma_f32 v122, v122, s64, -v53                            // 00000002B278: D1CB007A 84D4817A
	v_fma_f32 v123, v123, s64, -v53                            // 00000002B280: D1CB007B 84D4817B
	v_fma_f32 v124, v124, s64, -v53                            // 00000002B288: D1CB007C 84D4817C
	v_fma_f32 v125, v125, s64, -v53                            // 00000002B290: D1CB007D 84D4817D
	v_fma_f32 v126, v126, s64, -v53                            // 00000002B298: D1CB007E 84D4817E
	v_fma_f32 v127, v127, s64, -v53                            // 00000002B2A0: D1CB007F 84D4817F
	v_exp_f32_e32 v112, v112                                   // 00000002B2A8: 7EE04170
	v_exp_f32_e32 v113, v113                                   // 00000002B2AC: 7EE24171
	v_exp_f32_e32 v114, v114                                   // 00000002B2B0: 7EE44172
	v_exp_f32_e32 v115, v115                                   // 00000002B2B4: 7EE64173
	v_exp_f32_e32 v116, v116                                   // 00000002B2B8: 7EE84174
	v_exp_f32_e32 v117, v117                                   // 00000002B2BC: 7EEA4175
	v_exp_f32_e32 v118, v118                                   // 00000002B2C0: 7EEC4176
	v_exp_f32_e32 v119, v119                                   // 00000002B2C4: 7EEE4177
	v_exp_f32_e32 v120, v120                                   // 00000002B2C8: 7EF04178
	v_exp_f32_e32 v121, v121                                   // 00000002B2CC: 7EF24179
	v_exp_f32_e32 v122, v122                                   // 00000002B2D0: 7EF4417A
	v_exp_f32_e32 v123, v123                                   // 00000002B2D4: 7EF6417B
	v_exp_f32_e32 v124, v124                                   // 00000002B2D8: 7EF8417C
	v_exp_f32_e32 v125, v125                                   // 00000002B2DC: 7EFA417D
	v_exp_f32_e32 v126, v126                                   // 00000002B2E0: 7EFC417E
	v_exp_f32_e32 v127, v127                                   // 00000002B2E4: 7EFE417F
	v_mul_f32_dpp v240, v252, v112 quad_perm:[0,0,0,0] row_mask:0xf bank_mask:0xf// 00000002B2E8: 0BE0E0FA FF0000FC
	v_mul_f32_dpp v241, v252, v113 quad_perm:[1,1,1,1] row_mask:0xf bank_mask:0xf// 00000002B2F0: 0BE2E2FA FF0055FC
	v_mul_f32_dpp v242, v252, v114 quad_perm:[2,2,2,2] row_mask:0xf bank_mask:0xf// 00000002B2F8: 0BE4E4FA FF00AAFC
	v_mul_f32_dpp v243, v252, v115 quad_perm:[3,3,3,3] row_mask:0xf bank_mask:0xf// 00000002B300: 0BE6E6FA FF00FFFC
	v_mul_f32_dpp v244, v253, v116 quad_perm:[0,0,0,0] row_mask:0xf bank_mask:0xf// 00000002B308: 0BE8E8FA FF0000FD
	v_mul_f32_dpp v245, v253, v117 quad_perm:[1,1,1,1] row_mask:0xf bank_mask:0xf// 00000002B310: 0BEAEAFA FF0055FD
	v_mul_f32_dpp v246, v253, v118 quad_perm:[2,2,2,2] row_mask:0xf bank_mask:0xf// 00000002B318: 0BECECFA FF00AAFD
	v_mul_f32_dpp v247, v253, v119 quad_perm:[3,3,3,3] row_mask:0xf bank_mask:0xf// 00000002B320: 0BEEEEFA FF00FFFD
	v_mul_f32_dpp v248, v254, v120 quad_perm:[0,0,0,0] row_mask:0xf bank_mask:0xf// 00000002B328: 0BF0F0FA FF0000FE
	v_mul_f32_dpp v249, v254, v121 quad_perm:[1,1,1,1] row_mask:0xf bank_mask:0xf// 00000002B330: 0BF2F2FA FF0055FE
	v_mul_f32_dpp v250, v254, v122 quad_perm:[2,2,2,2] row_mask:0xf bank_mask:0xf// 00000002B338: 0BF4F4FA FF00AAFE
	v_mul_f32_dpp v251, v254, v123 quad_perm:[3,3,3,3] row_mask:0xf bank_mask:0xf// 00000002B340: 0BF6F6FA FF00FFFE
	v_mul_f32_dpp v252, v255, v124 quad_perm:[0,0,0,0] row_mask:0xf bank_mask:0xf// 00000002B348: 0BF8F8FA FF0000FF
	v_mul_f32_dpp v253, v255, v125 quad_perm:[1,1,1,1] row_mask:0xf bank_mask:0xf// 00000002B350: 0BFAFAFA FF0055FF
	v_mul_f32_dpp v254, v255, v126 quad_perm:[2,2,2,2] row_mask:0xf bank_mask:0xf// 00000002B358: 0BFCFCFA FF00AAFF
	v_mul_f32_dpp v255, v255, v127 quad_perm:[3,3,3,3] row_mask:0xf bank_mask:0xf// 00000002B360: 0BFEFEFA FF00FFFF
	v_mov_b32_e32 v48, 0x358637bd                              // 00000002B368: 7E6002FF 358637BD
	v_max3_f32 v48, |v240|, |v241|, v48                        // 00000002B370: D1D30330 04C3E3F0
	v_max3_f32 v48, |v242|, |v243|, v48                        // 00000002B378: D1D30330 04C3E7F2
	v_max3_f32 v48, |v244|, |v245|, v48                        // 00000002B380: D1D30330 04C3EBF4
	v_max3_f32 v48, |v246|, |v247|, v48                        // 00000002B388: D1D30330 04C3EFF6
	v_max3_f32 v48, |v248|, |v249|, v48                        // 00000002B390: D1D30330 04C3F3F8
	v_max3_f32 v48, |v250|, |v251|, v48                        // 00000002B398: D1D30330 04C3F7FA
	v_max3_f32 v48, |v252|, |v253|, v48                        // 00000002B3A0: D1D30330 04C3FBFC
	v_max3_f32 v48, |v254|, |v255|, v48                        // 00000002B3A8: D1D30330 04C3FFFE
	ds_write_b32 v8, v48 offset:20992                          // 00000002B3B0: D81A5200 00003008
	v_sub_f32_e32 v49, v11, v15                                // 00000002B3B8: 04621F0B
	v_cndmask_b32_e64 v49, v49, 0, s[40:41]                    // 00000002B3BC: D1000031 00A10131
	v_mov_b32_e32 v11, v15                                     // 00000002B3C4: 7E16030F
	v_mul_f32_e32 v49, s64, v49                                // 00000002B3C8: 0A626240
	v_exp_f32_e32 v49, v49                                     // 00000002B3CC: 7E624131
	s_waitcnt lgkmcnt(0)                                       // 00000002B3D0: BF8CC07F
	s_barrier                                                  // 00000002B3D4: BF8A0000
	ds_read_b32 v64, v7 offset:20992                           // 00000002B3D8: D86C5200 40000007
	ds_read_b32 v65, v7 offset:21056                           // 00000002B3E0: D86C5240 41000007
	ds_read_b32 v66, v7 offset:21120                           // 00000002B3E8: D86C5280 42000007
	ds_read_b32 v67, v7 offset:21184                           // 00000002B3F0: D86C52C0 43000007
	ds_read_b32 v68, v7 offset:21248                           // 00000002B3F8: D86C5300 44000007
	ds_read_b32 v69, v7 offset:21312                           // 00000002B400: D86C5340 45000007
	ds_read_b32 v70, v7 offset:21376                           // 00000002B408: D86C5380 46000007
	ds_read_b32 v71, v7 offset:21440                           // 00000002B410: D86C53C0 47000007
	ds_read_b32 v72, v7 offset:21504                           // 00000002B418: D86C5400 48000007
	ds_read_b32 v73, v7 offset:21568                           // 00000002B420: D86C5440 49000007
	ds_read_b32 v74, v7 offset:21632                           // 00000002B428: D86C5480 4A000007
	ds_read_b32 v75, v7 offset:21696                           // 00000002B430: D86C54C0 4B000007
	ds_read_b32 v76, v7 offset:21760                           // 00000002B438: D86C5500 4C000007
	ds_read_b32 v77, v7 offset:21824                           // 00000002B440: D86C5540 4D000007
	ds_read_b32 v78, v7 offset:21888                           // 00000002B448: D86C5580 4E000007
	ds_read_b32 v79, v7 offset:21952                           // 00000002B450: D86C55C0 4F000007
	v_mul_f32_e32 v38, v49, v38                                // 00000002B458: 0A4C4D31
	v_mov_b32_e32 v15, v112                                    // 00000002B45C: 7E1E0370
	v_add_f32_e32 v15, v113, v15                               // 00000002B460: 021E1F71
	v_add_f32_e32 v15, v114, v15                               // 00000002B464: 021E1F72
	v_add_f32_e32 v15, v115, v15                               // 00000002B468: 021E1F73
	v_add_f32_e32 v15, v116, v15                               // 00000002B46C: 021E1F74
	v_add_f32_e32 v15, v117, v15                               // 00000002B470: 021E1F75
	v_add_f32_e32 v15, v118, v15                               // 00000002B474: 021E1F76
	v_add_f32_e32 v15, v119, v15                               // 00000002B478: 021E1F77
	v_add_f32_e32 v15, v120, v15                               // 00000002B47C: 021E1F78
	v_add_f32_e32 v15, v121, v15                               // 00000002B480: 021E1F79
	v_add_f32_e32 v15, v122, v15                               // 00000002B484: 021E1F7A
	v_add_f32_e32 v15, v123, v15                               // 00000002B488: 021E1F7B
	v_add_f32_e32 v15, v124, v15                               // 00000002B48C: 021E1F7C
	v_add_f32_e32 v15, v125, v15                               // 00000002B490: 021E1F7D
	v_add_f32_e32 v15, v126, v15                               // 00000002B494: 021E1F7E
	v_add_f32_e32 v15, v127, v15                               // 00000002B498: 021E1F7F
	v_add_f32_e32 v38, v15, v38                                // 00000002B49C: 024C4D0F
	s_waitcnt lgkmcnt(0)                                       // 00000002B4A0: BF8CC07F
	v_max3_f32 v48, |v64|, |v65|, v48                          // 00000002B4A4: D1D30330 04C28340
	v_max3_f32 v48, |v66|, |v67|, v48                          // 00000002B4AC: D1D30330 04C28742
	v_max3_f32 v48, |v68|, |v69|, v48                          // 00000002B4B4: D1D30330 04C28B44
	v_max3_f32 v48, |v70|, |v71|, v48                          // 00000002B4BC: D1D30330 04C28F46
	v_max3_f32 v48, |v72|, |v73|, v48                          // 00000002B4C4: D1D30330 04C29348
	v_max3_f32 v48, |v74|, |v75|, v48                          // 00000002B4CC: D1D30330 04C2974A
	v_max3_f32 v48, |v76|, |v77|, v48                          // 00000002B4D4: D1D30330 04C29B4C
	v_max3_f32 v48, |v78|, |v79|, v48                          // 00000002B4DC: D1D30330 04C29F4E
	s_nop 2                                                    // 00000002B4E4: BF800002
	v_rcp_f32_e32 v48, v48                                     // 00000002B4E8: 7E604530
	s_nop 1                                                    // 00000002B4EC: BF800001
	v_mul_f32_e32 v48, 0x42fe0000, v48                         // 00000002B4F0: 0A6060FF 42FE0000
	v_mul_f32_e32 v112, v48, v240                              // 00000002B4F8: 0AE1E130
	v_mul_f32_e32 v113, v48, v241                              // 00000002B4FC: 0AE3E330
	v_mul_f32_e32 v114, v48, v242                              // 00000002B500: 0AE5E530
	v_mul_f32_e32 v115, v48, v243                              // 00000002B504: 0AE7E730
	v_mul_f32_e32 v116, v48, v244                              // 00000002B508: 0AE9E930
	v_mul_f32_e32 v117, v48, v245                              // 00000002B50C: 0AEBEB30
	v_mul_f32_e32 v118, v48, v246                              // 00000002B510: 0AEDED30
	v_mul_f32_e32 v119, v48, v247                              // 00000002B514: 0AEFEF30
	v_mul_f32_e32 v120, v48, v248                              // 00000002B518: 0AF1F130
	v_mul_f32_e32 v121, v48, v249                              // 00000002B51C: 0AF3F330
	v_mul_f32_e32 v122, v48, v250                              // 00000002B520: 0AF5F530
	v_mul_f32_e32 v123, v48, v251                              // 00000002B524: 0AF7F730
	v_mul_f32_e32 v124, v48, v252                              // 00000002B528: 0AF9F930
	v_mul_f32_e32 v125, v48, v253                              // 00000002B52C: 0AFBFB30
	v_mul_f32_e32 v126, v48, v254                              // 00000002B530: 0AFDFD30
	v_mul_f32_e32 v127, v48, v255                              // 00000002B534: 0AFFFF30
	v_cvt_i32_f32_e32 v112, v112                               // 00000002B538: 7EE01170
	v_cvt_i32_f32_e32 v113, v113                               // 00000002B53C: 7EE21171
	v_cvt_i32_f32_e32 v114, v114                               // 00000002B540: 7EE41172
	v_cvt_i32_f32_e32 v115, v115                               // 00000002B544: 7EE61173
	v_cvt_i32_f32_e32 v116, v116                               // 00000002B548: 7EE81174
	v_cvt_i32_f32_e32 v117, v117                               // 00000002B54C: 7EEA1175
	v_cvt_i32_f32_e32 v118, v118                               // 00000002B550: 7EEC1176
	v_cvt_i32_f32_e32 v119, v119                               // 00000002B554: 7EEE1177
	v_cvt_i32_f32_e32 v120, v120                               // 00000002B558: 7EF01178
	v_cvt_i32_f32_e32 v121, v121                               // 00000002B55C: 7EF21179
	v_cvt_i32_f32_e32 v122, v122                               // 00000002B560: 7EF4117A
	v_cvt_i32_f32_e32 v123, v123                               // 00000002B564: 7EF6117B
	v_cvt_i32_f32_e32 v124, v124                               // 00000002B568: 7EF8117C
	v_cvt_i32_f32_e32 v125, v125                               // 00000002B56C: 7EFA117D
	v_cvt_i32_f32_e32 v126, v126                               // 00000002B570: 7EFC117E
	v_cvt_i32_f32_e32 v127, v127                               // 00000002B574: 7EFE117F
	v_perm_b32 v112, v113, v112, s53                           // 00000002B578: D1ED0070 00D6E171
	v_perm_b32 v112, v114, v112, s54                           // 00000002B580: D1ED0070 00DAE172
	v_perm_b32 v112, v115, v112, s55                           // 00000002B588: D1ED0070 00DEE173
	v_perm_b32 v113, v117, v116, s53                           // 00000002B590: D1ED0071 00D6E975
	v_perm_b32 v113, v118, v113, s54                           // 00000002B598: D1ED0071 00DAE376
	v_perm_b32 v113, v119, v113, s55                           // 00000002B5A0: D1ED0071 00DEE377
	v_perm_b32 v114, v121, v120, s53                           // 00000002B5A8: D1ED0072 00D6F179
	v_perm_b32 v114, v122, v114, s54                           // 00000002B5B0: D1ED0072 00DAE57A
	v_perm_b32 v114, v123, v114, s55                           // 00000002B5B8: D1ED0072 00DEE57B
	v_perm_b32 v115, v125, v124, s53                           // 00000002B5C0: D1ED0073 00D6F97D
	v_perm_b32 v115, v126, v115, s54                           // 00000002B5C8: D1ED0073 00DAE77E
	v_perm_b32 v115, v127, v115, s55                           // 00000002B5D0: D1ED0073 00DEE77F
	ds_write_b32 v10, v112 offset:25088                        // 00000002B5D8: D81A6200 0000700A
	ds_write_b32 v10, v113 offset:26112                        // 00000002B5E0: D81A6600 0000710A
	ds_write_b32 v10, v114 offset:27136                        // 00000002B5E8: D81A6A00 0000720A
	ds_write_b32 v10, v115 offset:28160                        // 00000002B5F0: D81A6E00 0000730A
	v_add_f32_e32 v208, v208, v176                             // 00000002B5F8: 03A161D0
	v_add_f32_e32 v209, v209, v177                             // 00000002B5FC: 03A363D1
	v_add_f32_e32 v210, v210, v178                             // 00000002B600: 03A565D2
	v_add_f32_e32 v211, v211, v179                             // 00000002B604: 03A767D3
	v_add_f32_e32 v212, v212, v180                             // 00000002B608: 03A969D4
	v_add_f32_e32 v213, v213, v181                             // 00000002B60C: 03AB6BD5
	v_add_f32_e32 v214, v214, v182                             // 00000002B610: 03AD6DD6
	v_add_f32_e32 v215, v215, v183                             // 00000002B614: 03AF6FD7
	v_rcp_f32_e32 v44, v48                                     // 00000002B618: 7E584530
	s_waitcnt lgkmcnt(0)                                       // 00000002B61C: BF8CC07F
	s_barrier                                                  // 00000002B620: BF8A0000
	ds_read_b64 v[112:113], v9 offset:25088                    // 00000002B624: D8EC6200 70000009
	ds_read_b64 v[114:115], v9 offset:25216                    // 00000002B62C: D8EC6280 72000009
	ds_read_b64 v[116:117], v9 offset:26112                    // 00000002B634: D8EC6600 74000009
	ds_read_b64 v[118:119], v9 offset:26240                    // 00000002B63C: D8EC6680 76000009
	ds_read_b64 v[120:121], v9 offset:27136                    // 00000002B644: D8EC6A00 78000009
	ds_read_b64 v[122:123], v9 offset:27264                    // 00000002B64C: D8EC6A80 7A000009
	ds_read_b64 v[124:125], v9 offset:28160                    // 00000002B654: D8EC6E00 7C000009
	ds_read_b64 v[126:127], v9 offset:28288                    // 00000002B65C: D8EC6E80 7E000009
	v_mov_b32_dpp v64, v42 row_shr:4 row_mask:0xf bank_mask:0xf// 00000002B664: 7E8002FA FF01142A
	v_mov_b32_dpp v65, v42 row_shl:4 row_mask:0xf bank_mask:0xf// 00000002B66C: 7E8202FA FF01042A
	v_cndmask_b32_e64 v248, v42, v64, s[44:45]                 // 00000002B674: D10000F8 00B2812A
	v_cndmask_b32_e64 v249, v65, v42, s[44:45]                 // 00000002B67C: D10000F9 00B25541
	v_mov_b32_dpp v64, v248 row_shr:8 row_mask:0xf bank_mask:0xf// 00000002B684: 7E8002FA FF0118F8
	v_mov_b32_dpp v65, v248 row_shl:8 row_mask:0xf bank_mask:0xf// 00000002B68C: 7E8202FA FF0108F8
	v_mov_b32_dpp v66, v249 row_shr:8 row_mask:0xf bank_mask:0xf// 00000002B694: 7E8402FA FF0118F9
	v_mov_b32_dpp v67, v249 row_shl:8 row_mask:0xf bank_mask:0xf// 00000002B69C: 7E8602FA FF0108F9
	v_mov_b32_e32 v68, v248                                    // 00000002B6A4: 7E8803F8
	v_mov_b32_e32 v69, v249                                    // 00000002B6A8: 7E8A03F9
	v_cndmask_b32_e64 v248, v68, v64, s[42:43]                 // 00000002B6AC: D10000F8 00AA8144
	v_cndmask_b32_e64 v250, v68, v65, s[78:79]                 // 00000002B6B4: D10000FA 013A8344
	v_cndmask_b32_e64 v249, v69, v66, s[42:43]                 // 00000002B6BC: D10000F9 00AA8545
	v_cndmask_b32_e64 v251, v69, v67, s[78:79]                 // 00000002B6C4: D10000FB 013A8745
	v_mov_b32_dpp v64, v57 row_shr:4 row_mask:0xf bank_mask:0xf// 00000002B6CC: 7E8002FA FF011439
	v_mov_b32_dpp v65, v57 row_shl:4 row_mask:0xf bank_mask:0xf// 00000002B6D4: 7E8202FA FF010439
	v_cndmask_b32_e64 v252, v57, v64, s[44:45]                 // 00000002B6DC: D10000FC 00B28139
	v_cndmask_b32_e64 v253, v65, v57, s[44:45]                 // 00000002B6E4: D10000FD 00B27341
	v_mov_b32_dpp v64, v252 row_shr:8 row_mask:0xf bank_mask:0xf// 00000002B6EC: 7E8002FA FF0118FC
	v_mov_b32_dpp v65, v252 row_shl:8 row_mask:0xf bank_mask:0xf// 00000002B6F4: 7E8202FA FF0108FC
	v_mov_b32_dpp v66, v253 row_shr:8 row_mask:0xf bank_mask:0xf// 00000002B6FC: 7E8402FA FF0118FD
	v_mov_b32_dpp v67, v253 row_shl:8 row_mask:0xf bank_mask:0xf// 00000002B704: 7E8602FA FF0108FD
	v_mov_b32_e32 v68, v252                                    // 00000002B70C: 7E8803FC
	v_mov_b32_e32 v69, v253                                    // 00000002B710: 7E8A03FD
	v_cndmask_b32_e64 v252, v68, v64, s[42:43]                 // 00000002B714: D10000FC 00AA8144
	v_cndmask_b32_e64 v254, v68, v65, s[78:79]                 // 00000002B71C: D10000FE 013A8344
	v_cndmask_b32_e64 v253, v69, v66, s[42:43]                 // 00000002B724: D10000FD 00AA8545
	v_cndmask_b32_e64 v255, v69, v67, s[78:79]                 // 00000002B72C: D10000FF 013A8745
	v_cvt_f32_i32_e32 v128, v128                               // 00000002B734: 7F000B80
	v_cvt_f32_i32_e32 v129, v129                               // 00000002B738: 7F020B81
	v_cvt_f32_i32_e32 v130, v130                               // 00000002B73C: 7F040B82
	v_cvt_f32_i32_e32 v131, v131                               // 00000002B740: 7F060B83
	v_cvt_f32_i32_e32 v132, v132                               // 00000002B744: 7F080B84
	v_cvt_f32_i32_e32 v133, v133                               // 00000002B748: 7F0A0B85
	v_cvt_f32_i32_e32 v134, v134                               // 00000002B74C: 7F0C0B86
	v_cvt_f32_i32_e32 v135, v135                               // 00000002B750: 7F0E0B87
	v_cvt_f32_i32_e32 v136, v136                               // 00000002B754: 7F100B88
	v_cvt_f32_i32_e32 v137, v137                               // 00000002B758: 7F120B89
	v_cvt_f32_i32_e32 v138, v138                               // 00000002B75C: 7F140B8A
	v_cvt_f32_i32_e32 v139, v139                               // 00000002B760: 7F160B8B
	v_cvt_f32_i32_e32 v140, v140                               // 00000002B764: 7F180B8C
	v_cvt_f32_i32_e32 v141, v141                               // 00000002B768: 7F1A0B8D
	v_cvt_f32_i32_e32 v142, v142                               // 00000002B76C: 7F1C0B8E
	v_cvt_f32_i32_e32 v143, v143                               // 00000002B770: 7F1E0B8F
	v_mul_f32_e32 v128, v19, v128                              // 00000002B774: 0B010113
	v_mul_f32_e32 v129, v19, v129                              // 00000002B778: 0B030313
	v_mul_f32_e32 v130, v19, v130                              // 00000002B77C: 0B050513
	v_mul_f32_e32 v131, v19, v131                              // 00000002B780: 0B070713
	v_mul_f32_e32 v132, v19, v132                              // 00000002B784: 0B090913
	v_mul_f32_e32 v133, v19, v133                              // 00000002B788: 0B0B0B13
	v_mul_f32_e32 v134, v19, v134                              // 00000002B78C: 0B0D0D13
	v_mul_f32_e32 v135, v19, v135                              // 00000002B790: 0B0F0F13
	v_mul_f32_e32 v136, v19, v136                              // 00000002B794: 0B111113
	v_mul_f32_e32 v137, v19, v137                              // 00000002B798: 0B131313
	v_mul_f32_e32 v138, v19, v138                              // 00000002B79C: 0B151513
	v_mul_f32_e32 v139, v19, v139                              // 00000002B7A0: 0B171713
	v_mul_f32_e32 v140, v19, v140                              // 00000002B7A4: 0B191913
	v_mul_f32_e32 v141, v19, v141                              // 00000002B7A8: 0B1B1B13
	v_mul_f32_e32 v142, v19, v142                              // 00000002B7AC: 0B1D1D13
	v_mul_f32_e32 v143, v19, v143                              // 00000002B7B0: 0B1F1F13
	v_mul_f32_dpp v128, v248, v128 quad_perm:[0,0,0,0] row_mask:0xf bank_mask:0xf// 00000002B7B4: 0B0100FA FF0000F8
	v_mul_f32_dpp v129, v248, v129 quad_perm:[1,1,1,1] row_mask:0xf bank_mask:0xf// 00000002B7BC: 0B0302FA FF0055F8
	v_mul_f32_dpp v130, v248, v130 quad_perm:[2,2,2,2] row_mask:0xf bank_mask:0xf// 00000002B7C4: 0B0504FA FF00AAF8
	v_mul_f32_dpp v131, v248, v131 quad_perm:[3,3,3,3] row_mask:0xf bank_mask:0xf// 00000002B7CC: 0B0706FA FF00FFF8
	v_mul_f32_dpp v132, v249, v132 quad_perm:[0,0,0,0] row_mask:0xf bank_mask:0xf// 00000002B7D4: 0B0908FA FF0000F9
	v_mul_f32_dpp v133, v249, v133 quad_perm:[1,1,1,1] row_mask:0xf bank_mask:0xf// 00000002B7DC: 0B0B0AFA FF0055F9
	v_mul_f32_dpp v134, v249, v134 quad_perm:[2,2,2,2] row_mask:0xf bank_mask:0xf// 00000002B7E4: 0B0D0CFA FF00AAF9
	v_mul_f32_dpp v135, v249, v135 quad_perm:[3,3,3,3] row_mask:0xf bank_mask:0xf// 00000002B7EC: 0B0F0EFA FF00FFF9
	v_mul_f32_dpp v136, v250, v136 quad_perm:[0,0,0,0] row_mask:0xf bank_mask:0xf// 00000002B7F4: 0B1110FA FF0000FA
	v_mul_f32_dpp v137, v250, v137 quad_perm:[1,1,1,1] row_mask:0xf bank_mask:0xf// 00000002B7FC: 0B1312FA FF0055FA
	v_mul_f32_dpp v138, v250, v138 quad_perm:[2,2,2,2] row_mask:0xf bank_mask:0xf// 00000002B804: 0B1514FA FF00AAFA
	v_mul_f32_dpp v139, v250, v139 quad_perm:[3,3,3,3] row_mask:0xf bank_mask:0xf// 00000002B80C: 0B1716FA FF00FFFA
	v_mul_f32_dpp v140, v251, v140 quad_perm:[0,0,0,0] row_mask:0xf bank_mask:0xf// 00000002B814: 0B1918FA FF0000FB
	v_mul_f32_dpp v141, v251, v141 quad_perm:[1,1,1,1] row_mask:0xf bank_mask:0xf// 00000002B81C: 0B1B1AFA FF0055FB
	v_mul_f32_dpp v142, v251, v142 quad_perm:[2,2,2,2] row_mask:0xf bank_mask:0xf// 00000002B824: 0B1D1CFA FF00AAFB
	v_mul_f32_dpp v143, v251, v143 quad_perm:[3,3,3,3] row_mask:0xf bank_mask:0xf// 00000002B82C: 0B1F1EFA FF00FFFB
	s_cmp_le_i32 s90, s89                                      // 00000002B834: BF05595A
	s_cbranch_scc1 label_A600                                  // 00000002B838: BF850071
	v_mov_b32_e32 v66, 0xff800000                              // 00000002B83C: 7E8402FF FF800000
	s_mov_b32 s60, s90                                         // 00000002B844: BEBC005A
	s_add_u32 s61, s89, 0xff                                   // 00000002B848: 803DFF59 000000FF
	v_mov_b32_e32 v64, s61                                     // 00000002B850: 7E80023D
	v_lshrrev_b32_e32 v240, 4, v0                              // 00000002B854: 21E00084
	v_mul_i32_i24_e32 v240, 4, v240                            // 00000002B858: 0DE1E084
	v_add_u32_e32 v240, s60, v240                              // 00000002B85C: 69E1E03C
	s_mov_b32 s61, 1                                           // 00000002B860: BEBD0081
	s_mul_i32 s60, 16, s7                                      // 00000002B864: 923C0790
	v_sub_u32_e64 v240, v240, s61                              // 00000002B868: D13500F0 00007BF0
	v_add_u32_e32 v240, s60, v240                              // 00000002B870: 69E1E03C
	v_add_u32_e32 v241, 1, v240                                // 00000002B874: 69E3E081
	v_add_u32_e32 v242, 2, v240                                // 00000002B878: 69E5E082
	v_add_u32_e32 v243, 3, v240                                // 00000002B87C: 69E7E083
	v_cmp_le_u32_e64 s[40:41], v240, v64                       // 00000002B880: D0CB0028 000281F0
	v_add_u32_e32 v240, 64, v240                               // 00000002B888: 69E1E0C0
	s_nop 0                                                    // 00000002B88C: BF800000
	v_cndmask_b32_e64 v128, v66, v128, s[40:41]                // 00000002B890: D1000080 00A30142
	v_cmp_le_u32_e64 s[40:41], v241, v64                       // 00000002B898: D0CB0028 000281F1
	v_add_u32_e32 v241, 64, v241                               // 00000002B8A0: 69E3E2C0
	s_nop 0                                                    // 00000002B8A4: BF800000
	v_cndmask_b32_e64 v129, v66, v129, s[40:41]                // 00000002B8A8: D1000081 00A30342
	v_cmp_le_u32_e64 s[40:41], v242, v64                       // 00000002B8B0: D0CB0028 000281F2
	v_add_u32_e32 v242, 64, v242                               // 00000002B8B8: 69E5E4C0
	s_nop 0                                                    // 00000002B8BC: BF800000
	v_cndmask_b32_e64 v130, v66, v130, s[40:41]                // 00000002B8C0: D1000082 00A30542
	v_cmp_le_u32_e64 s[40:41], v243, v64                       // 00000002B8C8: D0CB0028 000281F3
	v_add_u32_e32 v243, 64, v243                               // 00000002B8D0: 69E7E6C0
	s_nop 0                                                    // 00000002B8D4: BF800000
	v_cndmask_b32_e64 v131, v66, v131, s[40:41]                // 00000002B8D8: D1000083 00A30742
	v_cmp_le_u32_e64 s[40:41], v240, v64                       // 00000002B8E0: D0CB0028 000281F0
	v_add_u32_e32 v240, 64, v240                               // 00000002B8E8: 69E1E0C0
	s_nop 0                                                    // 00000002B8EC: BF800000
	v_cndmask_b32_e64 v132, v66, v132, s[40:41]                // 00000002B8F0: D1000084 00A30942
	v_cmp_le_u32_e64 s[40:41], v241, v64                       // 00000002B8F8: D0CB0028 000281F1
	v_add_u32_e32 v241, 64, v241                               // 00000002B900: 69E3E2C0
	s_nop 0                                                    // 00000002B904: BF800000
	v_cndmask_b32_e64 v133, v66, v133, s[40:41]                // 00000002B908: D1000085 00A30B42
	v_cmp_le_u32_e64 s[40:41], v242, v64                       // 00000002B910: D0CB0028 000281F2
	v_add_u32_e32 v242, 64, v242                               // 00000002B918: 69E5E4C0
	s_nop 0                                                    // 00000002B91C: BF800000
	v_cndmask_b32_e64 v134, v66, v134, s[40:41]                // 00000002B920: D1000086 00A30D42
	v_cmp_le_u32_e64 s[40:41], v243, v64                       // 00000002B928: D0CB0028 000281F3
	v_add_u32_e32 v243, 64, v243                               // 00000002B930: 69E7E6C0
	s_nop 0                                                    // 00000002B934: BF800000
	v_cndmask_b32_e64 v135, v66, v135, s[40:41]                // 00000002B938: D1000087 00A30F42
	v_cmp_le_u32_e64 s[40:41], v240, v64                       // 00000002B940: D0CB0028 000281F0
	v_add_u32_e32 v240, 64, v240                               // 00000002B948: 69E1E0C0
	s_nop 0                                                    // 00000002B94C: BF800000
	v_cndmask_b32_e64 v136, v66, v136, s[40:41]                // 00000002B950: D1000088 00A31142
	v_cmp_le_u32_e64 s[40:41], v241, v64                       // 00000002B958: D0CB0028 000281F1
	v_add_u32_e32 v241, 64, v241                               // 00000002B960: 69E3E2C0
	s_nop 0                                                    // 00000002B964: BF800000
	v_cndmask_b32_e64 v137, v66, v137, s[40:41]                // 00000002B968: D1000089 00A31342
	v_cmp_le_u32_e64 s[40:41], v242, v64                       // 00000002B970: D0CB0028 000281F2
	v_add_u32_e32 v242, 64, v242                               // 00000002B978: 69E5E4C0
	s_nop 0                                                    // 00000002B97C: BF800000
	v_cndmask_b32_e64 v138, v66, v138, s[40:41]                // 00000002B980: D100008A 00A31542
	v_cmp_le_u32_e64 s[40:41], v243, v64                       // 00000002B988: D0CB0028 000281F3
	v_add_u32_e32 v243, 64, v243                               // 00000002B990: 69E7E6C0
	s_nop 0                                                    // 00000002B994: BF800000
	v_cndmask_b32_e64 v139, v66, v139, s[40:41]                // 00000002B998: D100008B 00A31742
	v_cmp_le_u32_e64 s[40:41], v240, v64                       // 00000002B9A0: D0CB0028 000281F0
	v_add_u32_e32 v240, 64, v240                               // 00000002B9A8: 69E1E0C0
	s_nop 0                                                    // 00000002B9AC: BF800000
	v_cndmask_b32_e64 v140, v66, v140, s[40:41]                // 00000002B9B0: D100008C 00A31942
	v_cmp_le_u32_e64 s[40:41], v241, v64                       // 00000002B9B8: D0CB0028 000281F1
	v_add_u32_e32 v241, 64, v241                               // 00000002B9C0: 69E3E2C0
	s_nop 0                                                    // 00000002B9C4: BF800000
	v_cndmask_b32_e64 v141, v66, v141, s[40:41]                // 00000002B9C8: D100008D 00A31B42
	v_cmp_le_u32_e64 s[40:41], v242, v64                       // 00000002B9D0: D0CB0028 000281F2
	v_add_u32_e32 v242, 64, v242                               // 00000002B9D8: 69E5E4C0
	s_nop 0                                                    // 00000002B9DC: BF800000
	v_cndmask_b32_e64 v142, v66, v142, s[40:41]                // 00000002B9E0: D100008E 00A31D42
	v_cmp_le_u32_e64 s[40:41], v243, v64                       // 00000002B9E8: D0CB0028 000281F3
	v_add_u32_e32 v243, 64, v243                               // 00000002B9F0: 69E7E6C0
	s_nop 0                                                    // 00000002B9F4: BF800000
	v_cndmask_b32_e64 v143, v66, v143, s[40:41]                // 00000002B9F8: D100008F 00A31F42

000000000002ba00 <label_A600>:
	s_and_b32 s60, s72, 0xff                                   // 00000002BA00: 863CFF48 000000FF
	v_mov_b32_e32 v65, s60                                     // 00000002BA08: 7E82023C
	v_lshrrev_b32_e32 v240, 4, v0                              // 00000002BA0C: 21E00084
	v_mul_i32_i24_e32 v240, 4, v240                            // 00000002BA10: 0DE1E084
	s_mul_i32 s60, s7, 16                                      // 00000002BA14: 923C9007
	v_add_u32_e32 v240, s60, v240                              // 00000002BA18: 69E1E03C
	v_add_u32_e32 v241, 1, v240                                // 00000002BA1C: 69E3E081
	v_add_u32_e32 v242, 2, v240                                // 00000002BA20: 69E5E082
	v_add_u32_e32 v243, 3, v240                                // 00000002BA24: 69E7E083
	v_mov_b32_e32 v64, 0xff800000                              // 00000002BA28: 7E8002FF FF800000
	v_cmp_lt_u32_e64 s[40:41], v240, v65                       // 00000002BA30: D0C90028 000283F0
	v_add_u32_e32 v240, 64, v240                               // 00000002BA38: 69E1E0C0
	s_nop 0                                                    // 00000002BA3C: BF800000
	v_cndmask_b32_e64 v128, v64, v128, s[40:41]                // 00000002BA40: D1000080 00A30140
	v_cmp_lt_u32_e64 s[40:41], v241, v65                       // 00000002BA48: D0C90028 000283F1
	v_add_u32_e32 v241, 64, v241                               // 00000002BA50: 69E3E2C0
	s_nop 0                                                    // 00000002BA54: BF800000
	v_cndmask_b32_e64 v129, v64, v129, s[40:41]                // 00000002BA58: D1000081 00A30340
	v_cmp_lt_u32_e64 s[40:41], v242, v65                       // 00000002BA60: D0C90028 000283F2
	v_add_u32_e32 v242, 64, v242                               // 00000002BA68: 69E5E4C0
	s_nop 0                                                    // 00000002BA6C: BF800000
	v_cndmask_b32_e64 v130, v64, v130, s[40:41]                // 00000002BA70: D1000082 00A30540
	v_cmp_lt_u32_e64 s[40:41], v243, v65                       // 00000002BA78: D0C90028 000283F3
	v_add_u32_e32 v243, 64, v243                               // 00000002BA80: 69E7E6C0
	s_nop 0                                                    // 00000002BA84: BF800000
	v_cndmask_b32_e64 v131, v64, v131, s[40:41]                // 00000002BA88: D1000083 00A30740
	v_cmp_lt_u32_e64 s[40:41], v240, v65                       // 00000002BA90: D0C90028 000283F0
	v_add_u32_e32 v240, 64, v240                               // 00000002BA98: 69E1E0C0
	s_nop 0                                                    // 00000002BA9C: BF800000
	v_cndmask_b32_e64 v132, v64, v132, s[40:41]                // 00000002BAA0: D1000084 00A30940
	v_cmp_lt_u32_e64 s[40:41], v241, v65                       // 00000002BAA8: D0C90028 000283F1
	v_add_u32_e32 v241, 64, v241                               // 00000002BAB0: 69E3E2C0
	s_nop 0                                                    // 00000002BAB4: BF800000
	v_cndmask_b32_e64 v133, v64, v133, s[40:41]                // 00000002BAB8: D1000085 00A30B40
	v_cmp_lt_u32_e64 s[40:41], v242, v65                       // 00000002BAC0: D0C90028 000283F2
	v_add_u32_e32 v242, 64, v242                               // 00000002BAC8: 69E5E4C0
	s_nop 0                                                    // 00000002BACC: BF800000
	v_cndmask_b32_e64 v134, v64, v134, s[40:41]                // 00000002BAD0: D1000086 00A30D40
	v_cmp_lt_u32_e64 s[40:41], v243, v65                       // 00000002BAD8: D0C90028 000283F3
	v_add_u32_e32 v243, 64, v243                               // 00000002BAE0: 69E7E6C0
	s_nop 0                                                    // 00000002BAE4: BF800000
	v_cndmask_b32_e64 v135, v64, v135, s[40:41]                // 00000002BAE8: D1000087 00A30F40
	v_cmp_lt_u32_e64 s[40:41], v240, v65                       // 00000002BAF0: D0C90028 000283F0
	v_add_u32_e32 v240, 64, v240                               // 00000002BAF8: 69E1E0C0
	s_nop 0                                                    // 00000002BAFC: BF800000
	v_cndmask_b32_e64 v136, v64, v136, s[40:41]                // 00000002BB00: D1000088 00A31140
	v_cmp_lt_u32_e64 s[40:41], v241, v65                       // 00000002BB08: D0C90028 000283F1
	v_add_u32_e32 v241, 64, v241                               // 00000002BB10: 69E3E2C0
	s_nop 0                                                    // 00000002BB14: BF800000
	v_cndmask_b32_e64 v137, v64, v137, s[40:41]                // 00000002BB18: D1000089 00A31340
	v_cmp_lt_u32_e64 s[40:41], v242, v65                       // 00000002BB20: D0C90028 000283F2
	v_add_u32_e32 v242, 64, v242                               // 00000002BB28: 69E5E4C0
	s_nop 0                                                    // 00000002BB2C: BF800000
	v_cndmask_b32_e64 v138, v64, v138, s[40:41]                // 00000002BB30: D100008A 00A31540
	v_cmp_lt_u32_e64 s[40:41], v243, v65                       // 00000002BB38: D0C90028 000283F3
	v_add_u32_e32 v243, 64, v243                               // 00000002BB40: 69E7E6C0
	s_nop 0                                                    // 00000002BB44: BF800000
	v_cndmask_b32_e64 v139, v64, v139, s[40:41]                // 00000002BB48: D100008B 00A31740
	v_cmp_lt_u32_e64 s[40:41], v240, v65                       // 00000002BB50: D0C90028 000283F0
	v_add_u32_e32 v240, 64, v240                               // 00000002BB58: 69E1E0C0
	s_nop 0                                                    // 00000002BB5C: BF800000
	v_cndmask_b32_e64 v140, v64, v140, s[40:41]                // 00000002BB60: D100008C 00A31940
	v_cmp_lt_u32_e64 s[40:41], v241, v65                       // 00000002BB68: D0C90028 000283F1
	v_add_u32_e32 v241, 64, v241                               // 00000002BB70: 69E3E2C0
	s_nop 0                                                    // 00000002BB74: BF800000
	v_cndmask_b32_e64 v141, v64, v141, s[40:41]                // 00000002BB78: D100008D 00A31B40
	v_cmp_lt_u32_e64 s[40:41], v242, v65                       // 00000002BB80: D0C90028 000283F2
	v_add_u32_e32 v242, 64, v242                               // 00000002BB88: 69E5E4C0
	s_nop 0                                                    // 00000002BB8C: BF800000
	v_cndmask_b32_e64 v142, v64, v142, s[40:41]                // 00000002BB90: D100008E 00A31D40
	v_cmp_lt_u32_e64 s[40:41], v243, v65                       // 00000002BB98: D0C90028 000283F3
	v_add_u32_e32 v243, 64, v243                               // 00000002BBA0: 69E7E6C0
	s_nop 0                                                    // 00000002BBA4: BF800000
	v_cndmask_b32_e64 v143, v64, v143, s[40:41]                // 00000002BBA8: D100008F 00A31F40
	v_mov_b32_e32 v48, v128                                    // 00000002BBB0: 7E600380
	v_max3_f32 v48, v128, v129, v48                            // 00000002BBB4: D1D30030 04C30380
	v_max3_f32 v48, v130, v131, v48                            // 00000002BBBC: D1D30030 04C30782
	v_max3_f32 v48, v132, v133, v48                            // 00000002BBC4: D1D30030 04C30B84
	v_max3_f32 v48, v134, v135, v48                            // 00000002BBCC: D1D30030 04C30F86
	v_max3_f32 v48, v136, v137, v48                            // 00000002BBD4: D1D30030 04C31388
	v_max3_f32 v48, v138, v139, v48                            // 00000002BBDC: D1D30030 04C3178A
	v_max3_f32 v48, v140, v141, v48                            // 00000002BBE4: D1D30030 04C31B8C
	v_max3_f32 v48, v142, v143, v48                            // 00000002BBEC: D1D30030 04C31F8E
	ds_write_b32 v8, v48 offset:16896                          // 00000002BBF4: D81A4200 00003008
	v_mul_f32_e32 v216, v50, v216                              // 00000002BBFC: 0BB1B132
	v_mul_f32_e32 v217, v50, v217                              // 00000002BC00: 0BB3B332
	v_mul_f32_e32 v218, v50, v218                              // 00000002BC04: 0BB5B532
	v_mul_f32_e32 v219, v50, v219                              // 00000002BC08: 0BB7B732
	v_mul_f32_e32 v220, v50, v220                              // 00000002BC0C: 0BB9B932
	v_mul_f32_e32 v221, v50, v221                              // 00000002BC10: 0BBBBB32
	v_mul_f32_e32 v222, v50, v222                              // 00000002BC14: 0BBDBD32
	v_mul_f32_e32 v223, v50, v223                              // 00000002BC18: 0BBFBF32
	s_waitcnt lgkmcnt(0)                                       // 00000002BC1C: BF8CC07F
	s_barrier                                                  // 00000002BC20: BF8A0000
	ds_read_b32 v64, v7 offset:16896                           // 00000002BC24: D86C4200 40000007
	ds_read_b32 v65, v7 offset:16960                           // 00000002BC2C: D86C4240 41000007
	ds_read_b32 v66, v7 offset:17024                           // 00000002BC34: D86C4280 42000007
	ds_read_b32 v67, v7 offset:17088                           // 00000002BC3C: D86C42C0 43000007
	ds_read_b32 v68, v7 offset:17152                           // 00000002BC44: D86C4300 44000007
	ds_read_b32 v69, v7 offset:17216                           // 00000002BC4C: D86C4340 45000007
	ds_read_b32 v70, v7 offset:17280                           // 00000002BC54: D86C4380 46000007
	ds_read_b32 v71, v7 offset:17344                           // 00000002BC5C: D86C43C0 47000007
	ds_read_b32 v72, v7 offset:17408                           // 00000002BC64: D86C4400 48000007
	ds_read_b32 v73, v7 offset:17472                           // 00000002BC6C: D86C4440 49000007
	ds_read_b32 v74, v7 offset:17536                           // 00000002BC74: D86C4480 4A000007
	ds_read_b32 v75, v7 offset:17600                           // 00000002BC7C: D86C44C0 4B000007
	ds_read_b32 v76, v7 offset:17664                           // 00000002BC84: D86C4500 4C000007
	ds_read_b32 v77, v7 offset:17728                           // 00000002BC8C: D86C4540 4D000007
	ds_read_b32 v78, v7 offset:17792                           // 00000002BC94: D86C4580 4E000007
	ds_read_b32 v79, v7 offset:17856                           // 00000002BC9C: D86C45C0 4F000007
	v_cvt_f32_i32_e32 v184, v184                               // 00000002BCA4: 7F700BB8
	v_cvt_f32_i32_e32 v185, v185                               // 00000002BCA8: 7F720BB9
	v_cvt_f32_i32_e32 v186, v186                               // 00000002BCAC: 7F740BBA
	v_cvt_f32_i32_e32 v187, v187                               // 00000002BCB0: 7F760BBB
	v_cvt_f32_i32_e32 v188, v188                               // 00000002BCB4: 7F780BBC
	v_cvt_f32_i32_e32 v189, v189                               // 00000002BCB8: 7F7A0BBD
	v_cvt_f32_i32_e32 v190, v190                               // 00000002BCBC: 7F7C0BBE
	v_cvt_f32_i32_e32 v191, v191                               // 00000002BCC0: 7F7E0BBF
	v_mul_f32_e32 v184, v45, v184                              // 00000002BCC4: 0B71712D
	v_mul_f32_e32 v185, v45, v185                              // 00000002BCC8: 0B73732D
	v_mul_f32_e32 v186, v45, v186                              // 00000002BCCC: 0B75752D
	v_mul_f32_e32 v187, v45, v187                              // 00000002BCD0: 0B77772D
	v_mul_f32_e32 v188, v45, v188                              // 00000002BCD4: 0B79792D
	v_mul_f32_e32 v189, v45, v189                              // 00000002BCD8: 0B7B7B2D
	v_mul_f32_e32 v190, v45, v190                              // 00000002BCDC: 0B7D7D2D
	v_mul_f32_e32 v191, v45, v191                              // 00000002BCE0: 0B7F7F2D
	s_waitcnt lgkmcnt(0)                                       // 00000002BCE4: BF8CC07F
	v_max3_f32 v48, v64, v65, v48                              // 00000002BCE8: D1D30030 04C28340
	v_max3_f32 v48, v66, v67, v48                              // 00000002BCF0: D1D30030 04C28742
	v_max3_f32 v48, v68, v69, v48                              // 00000002BCF8: D1D30030 04C28B44
	v_max3_f32 v48, v70, v71, v48                              // 00000002BD00: D1D30030 04C28F46
	v_max3_f32 v48, v72, v73, v48                              // 00000002BD08: D1D30030 04C29348
	v_max3_f32 v48, v74, v75, v48                              // 00000002BD10: D1D30030 04C2974A
	v_max3_f32 v48, v76, v77, v48                              // 00000002BD18: D1D30030 04C29B4C
	v_max3_f32 v48, v78, v79, v48                              // 00000002BD20: D1D30030 04C29F4E
	v_mov_b32_e32 v64, 0xff800000                              // 00000002BD28: 7E8002FF FF800000
	v_cmp_eq_u32_e64 s[40:41], v64, v12                        // 00000002BD30: D0CA0028 00021940
	s_nop 1                                                    // 00000002BD38: BF800001
	v_max_f32_e32 v15, v48, v12                                // 00000002BD3C: 161E1930
	v_mul_f32_e32 v53, s64, v15                                // 00000002BD40: 0A6A1E40
	v_fma_f32 v128, v128, s64, -v53                            // 00000002BD44: D1CB0080 84D48180
	v_fma_f32 v129, v129, s64, -v53                            // 00000002BD4C: D1CB0081 84D48181
	v_fma_f32 v130, v130, s64, -v53                            // 00000002BD54: D1CB0082 84D48182
	v_fma_f32 v131, v131, s64, -v53                            // 00000002BD5C: D1CB0083 84D48183
	v_fma_f32 v132, v132, s64, -v53                            // 00000002BD64: D1CB0084 84D48184
	v_fma_f32 v133, v133, s64, -v53                            // 00000002BD6C: D1CB0085 84D48185
	v_fma_f32 v134, v134, s64, -v53                            // 00000002BD74: D1CB0086 84D48186
	v_fma_f32 v135, v135, s64, -v53                            // 00000002BD7C: D1CB0087 84D48187
	v_fma_f32 v136, v136, s64, -v53                            // 00000002BD84: D1CB0088 84D48188
	v_fma_f32 v137, v137, s64, -v53                            // 00000002BD8C: D1CB0089 84D48189
	v_fma_f32 v138, v138, s64, -v53                            // 00000002BD94: D1CB008A 84D4818A
	v_fma_f32 v139, v139, s64, -v53                            // 00000002BD9C: D1CB008B 84D4818B
	v_fma_f32 v140, v140, s64, -v53                            // 00000002BDA4: D1CB008C 84D4818C
	v_fma_f32 v141, v141, s64, -v53                            // 00000002BDAC: D1CB008D 84D4818D
	v_fma_f32 v142, v142, s64, -v53                            // 00000002BDB4: D1CB008E 84D4818E
	v_fma_f32 v143, v143, s64, -v53                            // 00000002BDBC: D1CB008F 84D4818F
	v_exp_f32_e32 v128, v128                                   // 00000002BDC4: 7F004180
	v_exp_f32_e32 v129, v129                                   // 00000002BDC8: 7F024181
	v_exp_f32_e32 v130, v130                                   // 00000002BDCC: 7F044182
	v_exp_f32_e32 v131, v131                                   // 00000002BDD0: 7F064183
	v_exp_f32_e32 v132, v132                                   // 00000002BDD4: 7F084184
	v_exp_f32_e32 v133, v133                                   // 00000002BDD8: 7F0A4185
	v_exp_f32_e32 v134, v134                                   // 00000002BDDC: 7F0C4186
	v_exp_f32_e32 v135, v135                                   // 00000002BDE0: 7F0E4187
	v_exp_f32_e32 v136, v136                                   // 00000002BDE4: 7F104188
	v_exp_f32_e32 v137, v137                                   // 00000002BDE8: 7F124189
	v_exp_f32_e32 v138, v138                                   // 00000002BDEC: 7F14418A
	v_exp_f32_e32 v139, v139                                   // 00000002BDF0: 7F16418B
	v_exp_f32_e32 v140, v140                                   // 00000002BDF4: 7F18418C
	v_exp_f32_e32 v141, v141                                   // 00000002BDF8: 7F1A418D
	v_exp_f32_e32 v142, v142                                   // 00000002BDFC: 7F1C418E
	v_exp_f32_e32 v143, v143                                   // 00000002BE00: 7F1E418F
	v_mul_f32_dpp v240, v252, v128 quad_perm:[0,0,0,0] row_mask:0xf bank_mask:0xf// 00000002BE04: 0BE100FA FF0000FC
	v_mul_f32_dpp v241, v252, v129 quad_perm:[1,1,1,1] row_mask:0xf bank_mask:0xf// 00000002BE0C: 0BE302FA FF0055FC
	v_mul_f32_dpp v242, v252, v130 quad_perm:[2,2,2,2] row_mask:0xf bank_mask:0xf// 00000002BE14: 0BE504FA FF00AAFC
	v_mul_f32_dpp v243, v252, v131 quad_perm:[3,3,3,3] row_mask:0xf bank_mask:0xf// 00000002BE1C: 0BE706FA FF00FFFC
	v_mul_f32_dpp v244, v253, v132 quad_perm:[0,0,0,0] row_mask:0xf bank_mask:0xf// 00000002BE24: 0BE908FA FF0000FD
	v_mul_f32_dpp v245, v253, v133 quad_perm:[1,1,1,1] row_mask:0xf bank_mask:0xf// 00000002BE2C: 0BEB0AFA FF0055FD
	v_mul_f32_dpp v246, v253, v134 quad_perm:[2,2,2,2] row_mask:0xf bank_mask:0xf// 00000002BE34: 0BED0CFA FF00AAFD
	v_mul_f32_dpp v247, v253, v135 quad_perm:[3,3,3,3] row_mask:0xf bank_mask:0xf// 00000002BE3C: 0BEF0EFA FF00FFFD
	v_mul_f32_dpp v248, v254, v136 quad_perm:[0,0,0,0] row_mask:0xf bank_mask:0xf// 00000002BE44: 0BF110FA FF0000FE
	v_mul_f32_dpp v249, v254, v137 quad_perm:[1,1,1,1] row_mask:0xf bank_mask:0xf// 00000002BE4C: 0BF312FA FF0055FE
	v_mul_f32_dpp v250, v254, v138 quad_perm:[2,2,2,2] row_mask:0xf bank_mask:0xf// 00000002BE54: 0BF514FA FF00AAFE
	v_mul_f32_dpp v251, v254, v139 quad_perm:[3,3,3,3] row_mask:0xf bank_mask:0xf// 00000002BE5C: 0BF716FA FF00FFFE
	v_mul_f32_dpp v252, v255, v140 quad_perm:[0,0,0,0] row_mask:0xf bank_mask:0xf// 00000002BE64: 0BF918FA FF0000FF
	v_mul_f32_dpp v253, v255, v141 quad_perm:[1,1,1,1] row_mask:0xf bank_mask:0xf// 00000002BE6C: 0BFB1AFA FF0055FF
	v_mul_f32_dpp v254, v255, v142 quad_perm:[2,2,2,2] row_mask:0xf bank_mask:0xf// 00000002BE74: 0BFD1CFA FF00AAFF
	v_mul_f32_dpp v255, v255, v143 quad_perm:[3,3,3,3] row_mask:0xf bank_mask:0xf// 00000002BE7C: 0BFF1EFA FF00FFFF
	v_mov_b32_e32 v48, 0x358637bd                              // 00000002BE84: 7E6002FF 358637BD
	v_max3_f32 v48, |v240|, |v241|, v48                        // 00000002BE8C: D1D30330 04C3E3F0
	v_max3_f32 v48, |v242|, |v243|, v48                        // 00000002BE94: D1D30330 04C3E7F2
	v_max3_f32 v48, |v244|, |v245|, v48                        // 00000002BE9C: D1D30330 04C3EBF4
	v_max3_f32 v48, |v246|, |v247|, v48                        // 00000002BEA4: D1D30330 04C3EFF6
	v_max3_f32 v48, |v248|, |v249|, v48                        // 00000002BEAC: D1D30330 04C3F3F8
	v_max3_f32 v48, |v250|, |v251|, v48                        // 00000002BEB4: D1D30330 04C3F7FA
	v_max3_f32 v48, |v252|, |v253|, v48                        // 00000002BEBC: D1D30330 04C3FBFC
	v_max3_f32 v48, |v254|, |v255|, v48                        // 00000002BEC4: D1D30330 04C3FFFE
	ds_write_b32 v8, v48 offset:20992                          // 00000002BECC: D81A5200 00003008
	v_sub_f32_e32 v50, v12, v15                                // 00000002BED4: 04641F0C
	v_cndmask_b32_e64 v50, v50, 0, s[40:41]                    // 00000002BED8: D1000032 00A10132
	v_mov_b32_e32 v12, v15                                     // 00000002BEE0: 7E18030F
	v_mul_f32_e32 v50, s64, v50                                // 00000002BEE4: 0A646440
	v_exp_f32_e32 v50, v50                                     // 00000002BEE8: 7E644132
	s_waitcnt lgkmcnt(0)                                       // 00000002BEEC: BF8CC07F
	s_barrier                                                  // 00000002BEF0: BF8A0000
	ds_read_b32 v64, v7 offset:20992                           // 00000002BEF4: D86C5200 40000007
	ds_read_b32 v65, v7 offset:21056                           // 00000002BEFC: D86C5240 41000007
	ds_read_b32 v66, v7 offset:21120                           // 00000002BF04: D86C5280 42000007
	ds_read_b32 v67, v7 offset:21184                           // 00000002BF0C: D86C52C0 43000007
	ds_read_b32 v68, v7 offset:21248                           // 00000002BF14: D86C5300 44000007
	ds_read_b32 v69, v7 offset:21312                           // 00000002BF1C: D86C5340 45000007
	ds_read_b32 v70, v7 offset:21376                           // 00000002BF24: D86C5380 46000007
	ds_read_b32 v71, v7 offset:21440                           // 00000002BF2C: D86C53C0 47000007
	ds_read_b32 v72, v7 offset:21504                           // 00000002BF34: D86C5400 48000007
	ds_read_b32 v73, v7 offset:21568                           // 00000002BF3C: D86C5440 49000007
	ds_read_b32 v74, v7 offset:21632                           // 00000002BF44: D86C5480 4A000007
	ds_read_b32 v75, v7 offset:21696                           // 00000002BF4C: D86C54C0 4B000007
	ds_read_b32 v76, v7 offset:21760                           // 00000002BF54: D86C5500 4C000007
	ds_read_b32 v77, v7 offset:21824                           // 00000002BF5C: D86C5540 4D000007
	ds_read_b32 v78, v7 offset:21888                           // 00000002BF64: D86C5580 4E000007
	ds_read_b32 v79, v7 offset:21952                           // 00000002BF6C: D86C55C0 4F000007
	v_mul_f32_e32 v39, v50, v39                                // 00000002BF74: 0A4E4F32
	v_mov_b32_e32 v15, v128                                    // 00000002BF78: 7E1E0380
	v_add_f32_e32 v15, v129, v15                               // 00000002BF7C: 021E1F81
	v_add_f32_e32 v15, v130, v15                               // 00000002BF80: 021E1F82
	v_add_f32_e32 v15, v131, v15                               // 00000002BF84: 021E1F83
	v_add_f32_e32 v15, v132, v15                               // 00000002BF88: 021E1F84
	v_add_f32_e32 v15, v133, v15                               // 00000002BF8C: 021E1F85
	v_add_f32_e32 v15, v134, v15                               // 00000002BF90: 021E1F86
	v_add_f32_e32 v15, v135, v15                               // 00000002BF94: 021E1F87
	v_add_f32_e32 v15, v136, v15                               // 00000002BF98: 021E1F88
	v_add_f32_e32 v15, v137, v15                               // 00000002BF9C: 021E1F89
	v_add_f32_e32 v15, v138, v15                               // 00000002BFA0: 021E1F8A
	v_add_f32_e32 v15, v139, v15                               // 00000002BFA4: 021E1F8B
	v_add_f32_e32 v15, v140, v15                               // 00000002BFA8: 021E1F8C
	v_add_f32_e32 v15, v141, v15                               // 00000002BFAC: 021E1F8D
	v_add_f32_e32 v15, v142, v15                               // 00000002BFB0: 021E1F8E
	v_add_f32_e32 v15, v143, v15                               // 00000002BFB4: 021E1F8F
	v_add_f32_e32 v39, v15, v39                                // 00000002BFB8: 024E4F0F
	s_waitcnt lgkmcnt(0)                                       // 00000002BFBC: BF8CC07F
	v_max3_f32 v48, |v64|, |v65|, v48                          // 00000002BFC0: D1D30330 04C28340
	v_max3_f32 v48, |v66|, |v67|, v48                          // 00000002BFC8: D1D30330 04C28742
	v_max3_f32 v48, |v68|, |v69|, v48                          // 00000002BFD0: D1D30330 04C28B44
	v_max3_f32 v48, |v70|, |v71|, v48                          // 00000002BFD8: D1D30330 04C28F46
	v_max3_f32 v48, |v72|, |v73|, v48                          // 00000002BFE0: D1D30330 04C29348
	v_max3_f32 v48, |v74|, |v75|, v48                          // 00000002BFE8: D1D30330 04C2974A
	v_max3_f32 v48, |v76|, |v77|, v48                          // 00000002BFF0: D1D30330 04C29B4C
	v_max3_f32 v48, |v78|, |v79|, v48                          // 00000002BFF8: D1D30330 04C29F4E
	s_nop 2                                                    // 00000002C000: BF800002
	v_rcp_f32_e32 v48, v48                                     // 00000002C004: 7E604530
	s_nop 1                                                    // 00000002C008: BF800001
	v_mul_f32_e32 v48, 0x42fe0000, v48                         // 00000002C00C: 0A6060FF 42FE0000
	v_mul_f32_e32 v128, v48, v240                              // 00000002C014: 0B01E130
	v_mul_f32_e32 v129, v48, v241                              // 00000002C018: 0B03E330
	v_mul_f32_e32 v130, v48, v242                              // 00000002C01C: 0B05E530
	v_mul_f32_e32 v131, v48, v243                              // 00000002C020: 0B07E730
	v_mul_f32_e32 v132, v48, v244                              // 00000002C024: 0B09E930
	v_mul_f32_e32 v133, v48, v245                              // 00000002C028: 0B0BEB30
	v_mul_f32_e32 v134, v48, v246                              // 00000002C02C: 0B0DED30
	v_mul_f32_e32 v135, v48, v247                              // 00000002C030: 0B0FEF30
	v_mul_f32_e32 v136, v48, v248                              // 00000002C034: 0B11F130
	v_mul_f32_e32 v137, v48, v249                              // 00000002C038: 0B13F330
	v_mul_f32_e32 v138, v48, v250                              // 00000002C03C: 0B15F530
	v_mul_f32_e32 v139, v48, v251                              // 00000002C040: 0B17F730
	v_mul_f32_e32 v140, v48, v252                              // 00000002C044: 0B19F930
	v_mul_f32_e32 v141, v48, v253                              // 00000002C048: 0B1BFB30
	v_mul_f32_e32 v142, v48, v254                              // 00000002C04C: 0B1DFD30
	v_mul_f32_e32 v143, v48, v255                              // 00000002C050: 0B1FFF30
	v_cvt_i32_f32_e32 v128, v128                               // 00000002C054: 7F001180
	v_cvt_i32_f32_e32 v129, v129                               // 00000002C058: 7F021181
	v_cvt_i32_f32_e32 v130, v130                               // 00000002C05C: 7F041182
	v_cvt_i32_f32_e32 v131, v131                               // 00000002C060: 7F061183
	v_cvt_i32_f32_e32 v132, v132                               // 00000002C064: 7F081184
	v_cvt_i32_f32_e32 v133, v133                               // 00000002C068: 7F0A1185
	v_cvt_i32_f32_e32 v134, v134                               // 00000002C06C: 7F0C1186
	v_cvt_i32_f32_e32 v135, v135                               // 00000002C070: 7F0E1187
	v_cvt_i32_f32_e32 v136, v136                               // 00000002C074: 7F101188
	v_cvt_i32_f32_e32 v137, v137                               // 00000002C078: 7F121189
	v_cvt_i32_f32_e32 v138, v138                               // 00000002C07C: 7F14118A
	v_cvt_i32_f32_e32 v139, v139                               // 00000002C080: 7F16118B
	v_cvt_i32_f32_e32 v140, v140                               // 00000002C084: 7F18118C
	v_cvt_i32_f32_e32 v141, v141                               // 00000002C088: 7F1A118D
	v_cvt_i32_f32_e32 v142, v142                               // 00000002C08C: 7F1C118E
	v_cvt_i32_f32_e32 v143, v143                               // 00000002C090: 7F1E118F
	v_perm_b32 v128, v129, v128, s53                           // 00000002C094: D1ED0080 00D70181
	v_perm_b32 v128, v130, v128, s54                           // 00000002C09C: D1ED0080 00DB0182
	v_perm_b32 v128, v131, v128, s55                           // 00000002C0A4: D1ED0080 00DF0183
	v_perm_b32 v129, v133, v132, s53                           // 00000002C0AC: D1ED0081 00D70985
	v_perm_b32 v129, v134, v129, s54                           // 00000002C0B4: D1ED0081 00DB0386
	v_perm_b32 v129, v135, v129, s55                           // 00000002C0BC: D1ED0081 00DF0387
	v_perm_b32 v130, v137, v136, s53                           // 00000002C0C4: D1ED0082 00D71189
	v_perm_b32 v130, v138, v130, s54                           // 00000002C0CC: D1ED0082 00DB058A
	v_perm_b32 v130, v139, v130, s55                           // 00000002C0D4: D1ED0082 00DF058B
	v_perm_b32 v131, v141, v140, s53                           // 00000002C0DC: D1ED0083 00D7198D
	v_perm_b32 v131, v142, v131, s54                           // 00000002C0E4: D1ED0083 00DB078E
	v_perm_b32 v131, v143, v131, s55                           // 00000002C0EC: D1ED0083 00DF078F
	ds_write_b32 v10, v128 offset:29184                        // 00000002C0F4: D81A7200 0000800A
	ds_write_b32 v10, v129 offset:30208                        // 00000002C0FC: D81A7600 0000810A
	ds_write_b32 v10, v130 offset:31232                        // 00000002C104: D81A7A00 0000820A
	ds_write_b32 v10, v131 offset:32256                        // 00000002C10C: D81A7E00 0000830A
	v_add_f32_e32 v216, v216, v184                             // 00000002C114: 03B171D8
	v_add_f32_e32 v217, v217, v185                             // 00000002C118: 03B373D9
	v_add_f32_e32 v218, v218, v186                             // 00000002C11C: 03B575DA
	v_add_f32_e32 v219, v219, v187                             // 00000002C120: 03B777DB
	v_add_f32_e32 v220, v220, v188                             // 00000002C124: 03B979DC
	v_add_f32_e32 v221, v221, v189                             // 00000002C128: 03BB7BDD
	v_add_f32_e32 v222, v222, v190                             // 00000002C12C: 03BD7DDE
	v_add_f32_e32 v223, v223, v191                             // 00000002C130: 03BF7FDF
	v_rcp_f32_e32 v45, v48                                     // 00000002C134: 7E5A4530
	s_waitcnt lgkmcnt(0)                                       // 00000002C138: BF8CC07F
	s_barrier                                                  // 00000002C13C: BF8A0000
	ds_read_b64 v[128:129], v9 offset:29184                    // 00000002C140: D8EC7200 80000009
	ds_read_b64 v[130:131], v9 offset:29312                    // 00000002C148: D8EC7280 82000009
	ds_read_b64 v[132:133], v9 offset:30208                    // 00000002C150: D8EC7600 84000009
	ds_read_b64 v[134:135], v9 offset:30336                    // 00000002C158: D8EC7680 86000009
	ds_read_b64 v[136:137], v9 offset:31232                    // 00000002C160: D8EC7A00 88000009
	ds_read_b64 v[138:139], v9 offset:31360                    // 00000002C168: D8EC7A80 8A000009
	ds_read_b64 v[140:141], v9 offset:32256                    // 00000002C170: D8EC7E00 8C000009
	ds_read_b64 v[142:143], v9 offset:32384                    // 00000002C178: D8EC7E80 8E000009
	v_mov_b32_dpp v64, v42 row_shr:4 row_mask:0xf bank_mask:0xf// 00000002C180: 7E8002FA FF01142A
	v_mov_b32_dpp v65, v42 row_shl:4 row_mask:0xf bank_mask:0xf// 00000002C188: 7E8202FA FF01042A
	v_cndmask_b32_e64 v248, v42, v64, s[44:45]                 // 00000002C190: D10000F8 00B2812A
	v_cndmask_b32_e64 v249, v65, v42, s[44:45]                 // 00000002C198: D10000F9 00B25541
	v_mov_b32_dpp v64, v248 row_shr:8 row_mask:0xf bank_mask:0xf// 00000002C1A0: 7E8002FA FF0118F8
	v_mov_b32_dpp v65, v248 row_shl:8 row_mask:0xf bank_mask:0xf// 00000002C1A8: 7E8202FA FF0108F8
	v_mov_b32_dpp v66, v249 row_shr:8 row_mask:0xf bank_mask:0xf// 00000002C1B0: 7E8402FA FF0118F9
	v_mov_b32_dpp v67, v249 row_shl:8 row_mask:0xf bank_mask:0xf// 00000002C1B8: 7E8602FA FF0108F9
	v_mov_b32_e32 v68, v248                                    // 00000002C1C0: 7E8803F8
	v_mov_b32_e32 v69, v249                                    // 00000002C1C4: 7E8A03F9
	v_cndmask_b32_e64 v248, v68, v64, s[42:43]                 // 00000002C1C8: D10000F8 00AA8144
	v_cndmask_b32_e64 v250, v68, v65, s[78:79]                 // 00000002C1D0: D10000FA 013A8344
	v_cndmask_b32_e64 v249, v69, v66, s[42:43]                 // 00000002C1D8: D10000F9 00AA8545
	v_cndmask_b32_e64 v251, v69, v67, s[78:79]                 // 00000002C1E0: D10000FB 013A8745
	v_mov_b32_dpp v64, v57 row_shr:4 row_mask:0xf bank_mask:0xf// 00000002C1E8: 7E8002FA FF011439
	v_mov_b32_dpp v65, v57 row_shl:4 row_mask:0xf bank_mask:0xf// 00000002C1F0: 7E8202FA FF010439
	v_cndmask_b32_e64 v252, v57, v64, s[44:45]                 // 00000002C1F8: D10000FC 00B28139
	v_cndmask_b32_e64 v253, v65, v57, s[44:45]                 // 00000002C200: D10000FD 00B27341
	v_mov_b32_dpp v64, v252 row_shr:8 row_mask:0xf bank_mask:0xf// 00000002C208: 7E8002FA FF0118FC
	v_mov_b32_dpp v65, v252 row_shl:8 row_mask:0xf bank_mask:0xf// 00000002C210: 7E8202FA FF0108FC
	v_mov_b32_dpp v66, v253 row_shr:8 row_mask:0xf bank_mask:0xf// 00000002C218: 7E8402FA FF0118FD
	v_mov_b32_dpp v67, v253 row_shl:8 row_mask:0xf bank_mask:0xf// 00000002C220: 7E8602FA FF0108FD
	v_mov_b32_e32 v68, v252                                    // 00000002C228: 7E8803FC
	v_mov_b32_e32 v69, v253                                    // 00000002C22C: 7E8A03FD
	v_cndmask_b32_e64 v252, v68, v64, s[42:43]                 // 00000002C230: D10000FC 00AA8144
	v_cndmask_b32_e64 v254, v68, v65, s[78:79]                 // 00000002C238: D10000FE 013A8344
	v_cndmask_b32_e64 v253, v69, v66, s[42:43]                 // 00000002C240: D10000FD 00AA8545
	v_cndmask_b32_e64 v255, v69, v67, s[78:79]                 // 00000002C248: D10000FF 013A8745
	v_cvt_f32_i32_e32 v144, v144                               // 00000002C250: 7F200B90
	v_cvt_f32_i32_e32 v145, v145                               // 00000002C254: 7F220B91
	v_cvt_f32_i32_e32 v146, v146                               // 00000002C258: 7F240B92
	v_cvt_f32_i32_e32 v147, v147                               // 00000002C25C: 7F260B93
	v_cvt_f32_i32_e32 v148, v148                               // 00000002C260: 7F280B94
	v_cvt_f32_i32_e32 v149, v149                               // 00000002C264: 7F2A0B95
	v_cvt_f32_i32_e32 v150, v150                               // 00000002C268: 7F2C0B96
	v_cvt_f32_i32_e32 v151, v151                               // 00000002C26C: 7F2E0B97
	v_cvt_f32_i32_e32 v152, v152                               // 00000002C270: 7F300B98
	v_cvt_f32_i32_e32 v153, v153                               // 00000002C274: 7F320B99
	v_cvt_f32_i32_e32 v154, v154                               // 00000002C278: 7F340B9A
	v_cvt_f32_i32_e32 v155, v155                               // 00000002C27C: 7F360B9B
	v_cvt_f32_i32_e32 v156, v156                               // 00000002C280: 7F380B9C
	v_cvt_f32_i32_e32 v157, v157                               // 00000002C284: 7F3A0B9D
	v_cvt_f32_i32_e32 v158, v158                               // 00000002C288: 7F3C0B9E
	v_cvt_f32_i32_e32 v159, v159                               // 00000002C28C: 7F3E0B9F
	v_mul_f32_e32 v144, v20, v144                              // 00000002C290: 0B212114
	v_mul_f32_e32 v145, v20, v145                              // 00000002C294: 0B232314
	v_mul_f32_e32 v146, v20, v146                              // 00000002C298: 0B252514
	v_mul_f32_e32 v147, v20, v147                              // 00000002C29C: 0B272714
	v_mul_f32_e32 v148, v20, v148                              // 00000002C2A0: 0B292914
	v_mul_f32_e32 v149, v20, v149                              // 00000002C2A4: 0B2B2B14
	v_mul_f32_e32 v150, v20, v150                              // 00000002C2A8: 0B2D2D14
	v_mul_f32_e32 v151, v20, v151                              // 00000002C2AC: 0B2F2F14
	v_mul_f32_e32 v152, v20, v152                              // 00000002C2B0: 0B313114
	v_mul_f32_e32 v153, v20, v153                              // 00000002C2B4: 0B333314
	v_mul_f32_e32 v154, v20, v154                              // 00000002C2B8: 0B353514
	v_mul_f32_e32 v155, v20, v155                              // 00000002C2BC: 0B373714
	v_mul_f32_e32 v156, v20, v156                              // 00000002C2C0: 0B393914
	v_mul_f32_e32 v157, v20, v157                              // 00000002C2C4: 0B3B3B14
	v_mul_f32_e32 v158, v20, v158                              // 00000002C2C8: 0B3D3D14
	v_mul_f32_e32 v159, v20, v159                              // 00000002C2CC: 0B3F3F14
	v_mul_f32_dpp v144, v248, v144 quad_perm:[0,0,0,0] row_mask:0xf bank_mask:0xf// 00000002C2D0: 0B2120FA FF0000F8
	v_mul_f32_dpp v145, v248, v145 quad_perm:[1,1,1,1] row_mask:0xf bank_mask:0xf// 00000002C2D8: 0B2322FA FF0055F8
	v_mul_f32_dpp v146, v248, v146 quad_perm:[2,2,2,2] row_mask:0xf bank_mask:0xf// 00000002C2E0: 0B2524FA FF00AAF8
	v_mul_f32_dpp v147, v248, v147 quad_perm:[3,3,3,3] row_mask:0xf bank_mask:0xf// 00000002C2E8: 0B2726FA FF00FFF8
	v_mul_f32_dpp v148, v249, v148 quad_perm:[0,0,0,0] row_mask:0xf bank_mask:0xf// 00000002C2F0: 0B2928FA FF0000F9
	v_mul_f32_dpp v149, v249, v149 quad_perm:[1,1,1,1] row_mask:0xf bank_mask:0xf// 00000002C2F8: 0B2B2AFA FF0055F9
	v_mul_f32_dpp v150, v249, v150 quad_perm:[2,2,2,2] row_mask:0xf bank_mask:0xf// 00000002C300: 0B2D2CFA FF00AAF9
	v_mul_f32_dpp v151, v249, v151 quad_perm:[3,3,3,3] row_mask:0xf bank_mask:0xf// 00000002C308: 0B2F2EFA FF00FFF9
	v_mul_f32_dpp v152, v250, v152 quad_perm:[0,0,0,0] row_mask:0xf bank_mask:0xf// 00000002C310: 0B3130FA FF0000FA
	v_mul_f32_dpp v153, v250, v153 quad_perm:[1,1,1,1] row_mask:0xf bank_mask:0xf// 00000002C318: 0B3332FA FF0055FA
	v_mul_f32_dpp v154, v250, v154 quad_perm:[2,2,2,2] row_mask:0xf bank_mask:0xf// 00000002C320: 0B3534FA FF00AAFA
	v_mul_f32_dpp v155, v250, v155 quad_perm:[3,3,3,3] row_mask:0xf bank_mask:0xf// 00000002C328: 0B3736FA FF00FFFA
	v_mul_f32_dpp v156, v251, v156 quad_perm:[0,0,0,0] row_mask:0xf bank_mask:0xf// 00000002C330: 0B3938FA FF0000FB
	v_mul_f32_dpp v157, v251, v157 quad_perm:[1,1,1,1] row_mask:0xf bank_mask:0xf// 00000002C338: 0B3B3AFA FF0055FB
	v_mul_f32_dpp v158, v251, v158 quad_perm:[2,2,2,2] row_mask:0xf bank_mask:0xf// 00000002C340: 0B3D3CFA FF00AAFB
	v_mul_f32_dpp v159, v251, v159 quad_perm:[3,3,3,3] row_mask:0xf bank_mask:0xf// 00000002C348: 0B3F3EFA FF00FFFB
	s_cmp_le_i32 s90, s89                                      // 00000002C350: BF05595A
	s_cbranch_scc1 label_A8C7                                  // 00000002C354: BF850071
	v_mov_b32_e32 v66, 0xff800000                              // 00000002C358: 7E8402FF FF800000
	s_mov_b32 s60, s90                                         // 00000002C360: BEBC005A
	s_add_u32 s61, s89, 0xff                                   // 00000002C364: 803DFF59 000000FF
	v_mov_b32_e32 v64, s61                                     // 00000002C36C: 7E80023D
	v_lshrrev_b32_e32 v240, 4, v0                              // 00000002C370: 21E00084
	v_mul_i32_i24_e32 v240, 4, v240                            // 00000002C374: 0DE1E084
	v_add_u32_e32 v240, s60, v240                              // 00000002C378: 69E1E03C
	s_mov_b32 s61, 2                                           // 00000002C37C: BEBD0082
	s_mul_i32 s60, 16, s7                                      // 00000002C380: 923C0790
	v_sub_u32_e64 v240, v240, s61                              // 00000002C384: D13500F0 00007BF0
	v_add_u32_e32 v240, s60, v240                              // 00000002C38C: 69E1E03C
	v_add_u32_e32 v241, 1, v240                                // 00000002C390: 69E3E081
	v_add_u32_e32 v242, 2, v240                                // 00000002C394: 69E5E082
	v_add_u32_e32 v243, 3, v240                                // 00000002C398: 69E7E083
	v_cmp_le_u32_e64 s[40:41], v240, v64                       // 00000002C39C: D0CB0028 000281F0
	v_add_u32_e32 v240, 64, v240                               // 00000002C3A4: 69E1E0C0
	s_nop 0                                                    // 00000002C3A8: BF800000
	v_cndmask_b32_e64 v144, v66, v144, s[40:41]                // 00000002C3AC: D1000090 00A32142
	v_cmp_le_u32_e64 s[40:41], v241, v64                       // 00000002C3B4: D0CB0028 000281F1
	v_add_u32_e32 v241, 64, v241                               // 00000002C3BC: 69E3E2C0
	s_nop 0                                                    // 00000002C3C0: BF800000
	v_cndmask_b32_e64 v145, v66, v145, s[40:41]                // 00000002C3C4: D1000091 00A32342
	v_cmp_le_u32_e64 s[40:41], v242, v64                       // 00000002C3CC: D0CB0028 000281F2
	v_add_u32_e32 v242, 64, v242                               // 00000002C3D4: 69E5E4C0
	s_nop 0                                                    // 00000002C3D8: BF800000
	v_cndmask_b32_e64 v146, v66, v146, s[40:41]                // 00000002C3DC: D1000092 00A32542
	v_cmp_le_u32_e64 s[40:41], v243, v64                       // 00000002C3E4: D0CB0028 000281F3
	v_add_u32_e32 v243, 64, v243                               // 00000002C3EC: 69E7E6C0
	s_nop 0                                                    // 00000002C3F0: BF800000
	v_cndmask_b32_e64 v147, v66, v147, s[40:41]                // 00000002C3F4: D1000093 00A32742
	v_cmp_le_u32_e64 s[40:41], v240, v64                       // 00000002C3FC: D0CB0028 000281F0
	v_add_u32_e32 v240, 64, v240                               // 00000002C404: 69E1E0C0
	s_nop 0                                                    // 00000002C408: BF800000
	v_cndmask_b32_e64 v148, v66, v148, s[40:41]                // 00000002C40C: D1000094 00A32942
	v_cmp_le_u32_e64 s[40:41], v241, v64                       // 00000002C414: D0CB0028 000281F1
	v_add_u32_e32 v241, 64, v241                               // 00000002C41C: 69E3E2C0
	s_nop 0                                                    // 00000002C420: BF800000
	v_cndmask_b32_e64 v149, v66, v149, s[40:41]                // 00000002C424: D1000095 00A32B42
	v_cmp_le_u32_e64 s[40:41], v242, v64                       // 00000002C42C: D0CB0028 000281F2
	v_add_u32_e32 v242, 64, v242                               // 00000002C434: 69E5E4C0
	s_nop 0                                                    // 00000002C438: BF800000
	v_cndmask_b32_e64 v150, v66, v150, s[40:41]                // 00000002C43C: D1000096 00A32D42
	v_cmp_le_u32_e64 s[40:41], v243, v64                       // 00000002C444: D0CB0028 000281F3
	v_add_u32_e32 v243, 64, v243                               // 00000002C44C: 69E7E6C0
	s_nop 0                                                    // 00000002C450: BF800000
	v_cndmask_b32_e64 v151, v66, v151, s[40:41]                // 00000002C454: D1000097 00A32F42
	v_cmp_le_u32_e64 s[40:41], v240, v64                       // 00000002C45C: D0CB0028 000281F0
	v_add_u32_e32 v240, 64, v240                               // 00000002C464: 69E1E0C0
	s_nop 0                                                    // 00000002C468: BF800000
	v_cndmask_b32_e64 v152, v66, v152, s[40:41]                // 00000002C46C: D1000098 00A33142
	v_cmp_le_u32_e64 s[40:41], v241, v64                       // 00000002C474: D0CB0028 000281F1
	v_add_u32_e32 v241, 64, v241                               // 00000002C47C: 69E3E2C0
	s_nop 0                                                    // 00000002C480: BF800000
	v_cndmask_b32_e64 v153, v66, v153, s[40:41]                // 00000002C484: D1000099 00A33342
	v_cmp_le_u32_e64 s[40:41], v242, v64                       // 00000002C48C: D0CB0028 000281F2
	v_add_u32_e32 v242, 64, v242                               // 00000002C494: 69E5E4C0
	s_nop 0                                                    // 00000002C498: BF800000
	v_cndmask_b32_e64 v154, v66, v154, s[40:41]                // 00000002C49C: D100009A 00A33542
	v_cmp_le_u32_e64 s[40:41], v243, v64                       // 00000002C4A4: D0CB0028 000281F3
	v_add_u32_e32 v243, 64, v243                               // 00000002C4AC: 69E7E6C0
	s_nop 0                                                    // 00000002C4B0: BF800000
	v_cndmask_b32_e64 v155, v66, v155, s[40:41]                // 00000002C4B4: D100009B 00A33742
	v_cmp_le_u32_e64 s[40:41], v240, v64                       // 00000002C4BC: D0CB0028 000281F0
	v_add_u32_e32 v240, 64, v240                               // 00000002C4C4: 69E1E0C0
	s_nop 0                                                    // 00000002C4C8: BF800000
	v_cndmask_b32_e64 v156, v66, v156, s[40:41]                // 00000002C4CC: D100009C 00A33942
	v_cmp_le_u32_e64 s[40:41], v241, v64                       // 00000002C4D4: D0CB0028 000281F1
	v_add_u32_e32 v241, 64, v241                               // 00000002C4DC: 69E3E2C0
	s_nop 0                                                    // 00000002C4E0: BF800000
	v_cndmask_b32_e64 v157, v66, v157, s[40:41]                // 00000002C4E4: D100009D 00A33B42
	v_cmp_le_u32_e64 s[40:41], v242, v64                       // 00000002C4EC: D0CB0028 000281F2
	v_add_u32_e32 v242, 64, v242                               // 00000002C4F4: 69E5E4C0
	s_nop 0                                                    // 00000002C4F8: BF800000
	v_cndmask_b32_e64 v158, v66, v158, s[40:41]                // 00000002C4FC: D100009E 00A33D42
	v_cmp_le_u32_e64 s[40:41], v243, v64                       // 00000002C504: D0CB0028 000281F3
	v_add_u32_e32 v243, 64, v243                               // 00000002C50C: 69E7E6C0
	s_nop 0                                                    // 00000002C510: BF800000
	v_cndmask_b32_e64 v159, v66, v159, s[40:41]                // 00000002C514: D100009F 00A33F42

000000000002c51c <label_A8C7>:
	s_and_b32 s60, s72, 0xff                                   // 00000002C51C: 863CFF48 000000FF
	v_mov_b32_e32 v65, s60                                     // 00000002C524: 7E82023C
	v_lshrrev_b32_e32 v240, 4, v0                              // 00000002C528: 21E00084
	v_mul_i32_i24_e32 v240, 4, v240                            // 00000002C52C: 0DE1E084
	s_mul_i32 s60, s7, 16                                      // 00000002C530: 923C9007
	v_add_u32_e32 v240, s60, v240                              // 00000002C534: 69E1E03C
	v_add_u32_e32 v241, 1, v240                                // 00000002C538: 69E3E081
	v_add_u32_e32 v242, 2, v240                                // 00000002C53C: 69E5E082
	v_add_u32_e32 v243, 3, v240                                // 00000002C540: 69E7E083
	v_mov_b32_e32 v64, 0xff800000                              // 00000002C544: 7E8002FF FF800000
	v_cmp_lt_u32_e64 s[40:41], v240, v65                       // 00000002C54C: D0C90028 000283F0
	v_add_u32_e32 v240, 64, v240                               // 00000002C554: 69E1E0C0
	s_nop 0                                                    // 00000002C558: BF800000
	v_cndmask_b32_e64 v144, v64, v144, s[40:41]                // 00000002C55C: D1000090 00A32140
	v_cmp_lt_u32_e64 s[40:41], v241, v65                       // 00000002C564: D0C90028 000283F1
	v_add_u32_e32 v241, 64, v241                               // 00000002C56C: 69E3E2C0
	s_nop 0                                                    // 00000002C570: BF800000
	v_cndmask_b32_e64 v145, v64, v145, s[40:41]                // 00000002C574: D1000091 00A32340
	v_cmp_lt_u32_e64 s[40:41], v242, v65                       // 00000002C57C: D0C90028 000283F2
	v_add_u32_e32 v242, 64, v242                               // 00000002C584: 69E5E4C0
	s_nop 0                                                    // 00000002C588: BF800000
	v_cndmask_b32_e64 v146, v64, v146, s[40:41]                // 00000002C58C: D1000092 00A32540
	v_cmp_lt_u32_e64 s[40:41], v243, v65                       // 00000002C594: D0C90028 000283F3
	v_add_u32_e32 v243, 64, v243                               // 00000002C59C: 69E7E6C0
	s_nop 0                                                    // 00000002C5A0: BF800000
	v_cndmask_b32_e64 v147, v64, v147, s[40:41]                // 00000002C5A4: D1000093 00A32740
	v_cmp_lt_u32_e64 s[40:41], v240, v65                       // 00000002C5AC: D0C90028 000283F0
	v_add_u32_e32 v240, 64, v240                               // 00000002C5B4: 69E1E0C0
	s_nop 0                                                    // 00000002C5B8: BF800000
	v_cndmask_b32_e64 v148, v64, v148, s[40:41]                // 00000002C5BC: D1000094 00A32940
	v_cmp_lt_u32_e64 s[40:41], v241, v65                       // 00000002C5C4: D0C90028 000283F1
	v_add_u32_e32 v241, 64, v241                               // 00000002C5CC: 69E3E2C0
	s_nop 0                                                    // 00000002C5D0: BF800000
	v_cndmask_b32_e64 v149, v64, v149, s[40:41]                // 00000002C5D4: D1000095 00A32B40
	v_cmp_lt_u32_e64 s[40:41], v242, v65                       // 00000002C5DC: D0C90028 000283F2
	v_add_u32_e32 v242, 64, v242                               // 00000002C5E4: 69E5E4C0
	s_nop 0                                                    // 00000002C5E8: BF800000
	v_cndmask_b32_e64 v150, v64, v150, s[40:41]                // 00000002C5EC: D1000096 00A32D40
	v_cmp_lt_u32_e64 s[40:41], v243, v65                       // 00000002C5F4: D0C90028 000283F3
	v_add_u32_e32 v243, 64, v243                               // 00000002C5FC: 69E7E6C0
	s_nop 0                                                    // 00000002C600: BF800000
	v_cndmask_b32_e64 v151, v64, v151, s[40:41]                // 00000002C604: D1000097 00A32F40
	v_cmp_lt_u32_e64 s[40:41], v240, v65                       // 00000002C60C: D0C90028 000283F0
	v_add_u32_e32 v240, 64, v240                               // 00000002C614: 69E1E0C0
	s_nop 0                                                    // 00000002C618: BF800000
	v_cndmask_b32_e64 v152, v64, v152, s[40:41]                // 00000002C61C: D1000098 00A33140
	v_cmp_lt_u32_e64 s[40:41], v241, v65                       // 00000002C624: D0C90028 000283F1
	v_add_u32_e32 v241, 64, v241                               // 00000002C62C: 69E3E2C0
	s_nop 0                                                    // 00000002C630: BF800000
	v_cndmask_b32_e64 v153, v64, v153, s[40:41]                // 00000002C634: D1000099 00A33340
	v_cmp_lt_u32_e64 s[40:41], v242, v65                       // 00000002C63C: D0C90028 000283F2
	v_add_u32_e32 v242, 64, v242                               // 00000002C644: 69E5E4C0
	s_nop 0                                                    // 00000002C648: BF800000
	v_cndmask_b32_e64 v154, v64, v154, s[40:41]                // 00000002C64C: D100009A 00A33540
	v_cmp_lt_u32_e64 s[40:41], v243, v65                       // 00000002C654: D0C90028 000283F3
	v_add_u32_e32 v243, 64, v243                               // 00000002C65C: 69E7E6C0
	s_nop 0                                                    // 00000002C660: BF800000
	v_cndmask_b32_e64 v155, v64, v155, s[40:41]                // 00000002C664: D100009B 00A33740
	v_cmp_lt_u32_e64 s[40:41], v240, v65                       // 00000002C66C: D0C90028 000283F0
	v_add_u32_e32 v240, 64, v240                               // 00000002C674: 69E1E0C0
	s_nop 0                                                    // 00000002C678: BF800000
	v_cndmask_b32_e64 v156, v64, v156, s[40:41]                // 00000002C67C: D100009C 00A33940
	v_cmp_lt_u32_e64 s[40:41], v241, v65                       // 00000002C684: D0C90028 000283F1
	v_add_u32_e32 v241, 64, v241                               // 00000002C68C: 69E3E2C0
	s_nop 0                                                    // 00000002C690: BF800000
	v_cndmask_b32_e64 v157, v64, v157, s[40:41]                // 00000002C694: D100009D 00A33B40
	v_cmp_lt_u32_e64 s[40:41], v242, v65                       // 00000002C69C: D0C90028 000283F2
	v_add_u32_e32 v242, 64, v242                               // 00000002C6A4: 69E5E4C0
	s_nop 0                                                    // 00000002C6A8: BF800000
	v_cndmask_b32_e64 v158, v64, v158, s[40:41]                // 00000002C6AC: D100009E 00A33D40
	v_cmp_lt_u32_e64 s[40:41], v243, v65                       // 00000002C6B4: D0C90028 000283F3
	v_add_u32_e32 v243, 64, v243                               // 00000002C6BC: 69E7E6C0
	s_nop 0                                                    // 00000002C6C0: BF800000
	v_cndmask_b32_e64 v159, v64, v159, s[40:41]                // 00000002C6C4: D100009F 00A33F40
	v_mov_b32_e32 v48, v144                                    // 00000002C6CC: 7E600390
	v_max3_f32 v48, v144, v145, v48                            // 00000002C6D0: D1D30030 04C32390
	v_max3_f32 v48, v146, v147, v48                            // 00000002C6D8: D1D30030 04C32792
	v_max3_f32 v48, v148, v149, v48                            // 00000002C6E0: D1D30030 04C32B94
	v_max3_f32 v48, v150, v151, v48                            // 00000002C6E8: D1D30030 04C32F96
	v_max3_f32 v48, v152, v153, v48                            // 00000002C6F0: D1D30030 04C33398
	v_max3_f32 v48, v154, v155, v48                            // 00000002C6F8: D1D30030 04C3379A
	v_max3_f32 v48, v156, v157, v48                            // 00000002C700: D1D30030 04C33B9C
	v_max3_f32 v48, v158, v159, v48                            // 00000002C708: D1D30030 04C33F9E
	ds_write_b32 v8, v48 offset:16896                          // 00000002C710: D81A4200 00003008
	v_mul_f32_e32 v224, v51, v224                              // 00000002C718: 0BC1C133
	v_mul_f32_e32 v225, v51, v225                              // 00000002C71C: 0BC3C333
	v_mul_f32_e32 v226, v51, v226                              // 00000002C720: 0BC5C533
	v_mul_f32_e32 v227, v51, v227                              // 00000002C724: 0BC7C733
	v_mul_f32_e32 v228, v51, v228                              // 00000002C728: 0BC9C933
	v_mul_f32_e32 v229, v51, v229                              // 00000002C72C: 0BCBCB33
	v_mul_f32_e32 v230, v51, v230                              // 00000002C730: 0BCDCD33
	v_mul_f32_e32 v231, v51, v231                              // 00000002C734: 0BCFCF33
	s_waitcnt lgkmcnt(0)                                       // 00000002C738: BF8CC07F
	s_barrier                                                  // 00000002C73C: BF8A0000
	ds_read_b32 v64, v7 offset:16896                           // 00000002C740: D86C4200 40000007
	ds_read_b32 v65, v7 offset:16960                           // 00000002C748: D86C4240 41000007
	ds_read_b32 v66, v7 offset:17024                           // 00000002C750: D86C4280 42000007
	ds_read_b32 v67, v7 offset:17088                           // 00000002C758: D86C42C0 43000007
	ds_read_b32 v68, v7 offset:17152                           // 00000002C760: D86C4300 44000007
	ds_read_b32 v69, v7 offset:17216                           // 00000002C768: D86C4340 45000007
	ds_read_b32 v70, v7 offset:17280                           // 00000002C770: D86C4380 46000007
	ds_read_b32 v71, v7 offset:17344                           // 00000002C778: D86C43C0 47000007
	ds_read_b32 v72, v7 offset:17408                           // 00000002C780: D86C4400 48000007
	ds_read_b32 v73, v7 offset:17472                           // 00000002C788: D86C4440 49000007
	ds_read_b32 v74, v7 offset:17536                           // 00000002C790: D86C4480 4A000007
	ds_read_b32 v75, v7 offset:17600                           // 00000002C798: D86C44C0 4B000007
	ds_read_b32 v76, v7 offset:17664                           // 00000002C7A0: D86C4500 4C000007
	ds_read_b32 v77, v7 offset:17728                           // 00000002C7A8: D86C4540 4D000007
	ds_read_b32 v78, v7 offset:17792                           // 00000002C7B0: D86C4580 4E000007
	ds_read_b32 v79, v7 offset:17856                           // 00000002C7B8: D86C45C0 4F000007
	v_cvt_f32_i32_e32 v192, v192                               // 00000002C7C0: 7F800BC0
	v_cvt_f32_i32_e32 v193, v193                               // 00000002C7C4: 7F820BC1
	v_cvt_f32_i32_e32 v194, v194                               // 00000002C7C8: 7F840BC2
	v_cvt_f32_i32_e32 v195, v195                               // 00000002C7CC: 7F860BC3
	v_cvt_f32_i32_e32 v196, v196                               // 00000002C7D0: 7F880BC4
	v_cvt_f32_i32_e32 v197, v197                               // 00000002C7D4: 7F8A0BC5
	v_cvt_f32_i32_e32 v198, v198                               // 00000002C7D8: 7F8C0BC6
	v_cvt_f32_i32_e32 v199, v199                               // 00000002C7DC: 7F8E0BC7
	v_mul_f32_e32 v192, v46, v192                              // 00000002C7E0: 0B81812E
	v_mul_f32_e32 v193, v46, v193                              // 00000002C7E4: 0B83832E
	v_mul_f32_e32 v194, v46, v194                              // 00000002C7E8: 0B85852E
	v_mul_f32_e32 v195, v46, v195                              // 00000002C7EC: 0B87872E
	v_mul_f32_e32 v196, v46, v196                              // 00000002C7F0: 0B89892E
	v_mul_f32_e32 v197, v46, v197                              // 00000002C7F4: 0B8B8B2E
	v_mul_f32_e32 v198, v46, v198                              // 00000002C7F8: 0B8D8D2E
	v_mul_f32_e32 v199, v46, v199                              // 00000002C7FC: 0B8F8F2E
	s_waitcnt lgkmcnt(0)                                       // 00000002C800: BF8CC07F
	v_max3_f32 v48, v64, v65, v48                              // 00000002C804: D1D30030 04C28340
	v_max3_f32 v48, v66, v67, v48                              // 00000002C80C: D1D30030 04C28742
	v_max3_f32 v48, v68, v69, v48                              // 00000002C814: D1D30030 04C28B44
	v_max3_f32 v48, v70, v71, v48                              // 00000002C81C: D1D30030 04C28F46
	v_max3_f32 v48, v72, v73, v48                              // 00000002C824: D1D30030 04C29348
	v_max3_f32 v48, v74, v75, v48                              // 00000002C82C: D1D30030 04C2974A
	v_max3_f32 v48, v76, v77, v48                              // 00000002C834: D1D30030 04C29B4C
	v_max3_f32 v48, v78, v79, v48                              // 00000002C83C: D1D30030 04C29F4E
	v_mov_b32_e32 v64, 0xff800000                              // 00000002C844: 7E8002FF FF800000
	v_cmp_eq_u32_e64 s[40:41], v64, v13                        // 00000002C84C: D0CA0028 00021B40
	s_nop 1                                                    // 00000002C854: BF800001
	v_max_f32_e32 v15, v48, v13                                // 00000002C858: 161E1B30
	v_mul_f32_e32 v53, s64, v15                                // 00000002C85C: 0A6A1E40
	v_fma_f32 v144, v144, s64, -v53                            // 00000002C860: D1CB0090 84D48190
	v_fma_f32 v145, v145, s64, -v53                            // 00000002C868: D1CB0091 84D48191
	v_fma_f32 v146, v146, s64, -v53                            // 00000002C870: D1CB0092 84D48192
	v_fma_f32 v147, v147, s64, -v53                            // 00000002C878: D1CB0093 84D48193
	v_fma_f32 v148, v148, s64, -v53                            // 00000002C880: D1CB0094 84D48194
	v_fma_f32 v149, v149, s64, -v53                            // 00000002C888: D1CB0095 84D48195
	v_fma_f32 v150, v150, s64, -v53                            // 00000002C890: D1CB0096 84D48196
	v_fma_f32 v151, v151, s64, -v53                            // 00000002C898: D1CB0097 84D48197
	v_fma_f32 v152, v152, s64, -v53                            // 00000002C8A0: D1CB0098 84D48198
	v_fma_f32 v153, v153, s64, -v53                            // 00000002C8A8: D1CB0099 84D48199
	v_fma_f32 v154, v154, s64, -v53                            // 00000002C8B0: D1CB009A 84D4819A
	v_fma_f32 v155, v155, s64, -v53                            // 00000002C8B8: D1CB009B 84D4819B
	v_fma_f32 v156, v156, s64, -v53                            // 00000002C8C0: D1CB009C 84D4819C
	v_fma_f32 v157, v157, s64, -v53                            // 00000002C8C8: D1CB009D 84D4819D
	v_fma_f32 v158, v158, s64, -v53                            // 00000002C8D0: D1CB009E 84D4819E
	v_fma_f32 v159, v159, s64, -v53                            // 00000002C8D8: D1CB009F 84D4819F
	v_exp_f32_e32 v144, v144                                   // 00000002C8E0: 7F204190
	v_exp_f32_e32 v145, v145                                   // 00000002C8E4: 7F224191
	v_exp_f32_e32 v146, v146                                   // 00000002C8E8: 7F244192
	v_exp_f32_e32 v147, v147                                   // 00000002C8EC: 7F264193
	v_exp_f32_e32 v148, v148                                   // 00000002C8F0: 7F284194
	v_exp_f32_e32 v149, v149                                   // 00000002C8F4: 7F2A4195
	v_exp_f32_e32 v150, v150                                   // 00000002C8F8: 7F2C4196
	v_exp_f32_e32 v151, v151                                   // 00000002C8FC: 7F2E4197
	v_exp_f32_e32 v152, v152                                   // 00000002C900: 7F304198
	v_exp_f32_e32 v153, v153                                   // 00000002C904: 7F324199
	v_exp_f32_e32 v154, v154                                   // 00000002C908: 7F34419A
	v_exp_f32_e32 v155, v155                                   // 00000002C90C: 7F36419B
	v_exp_f32_e32 v156, v156                                   // 00000002C910: 7F38419C
	v_exp_f32_e32 v157, v157                                   // 00000002C914: 7F3A419D
	v_exp_f32_e32 v158, v158                                   // 00000002C918: 7F3C419E
	v_exp_f32_e32 v159, v159                                   // 00000002C91C: 7F3E419F
	v_mul_f32_dpp v240, v252, v144 quad_perm:[0,0,0,0] row_mask:0xf bank_mask:0xf// 00000002C920: 0BE120FA FF0000FC
	v_mul_f32_dpp v241, v252, v145 quad_perm:[1,1,1,1] row_mask:0xf bank_mask:0xf// 00000002C928: 0BE322FA FF0055FC
	v_mul_f32_dpp v242, v252, v146 quad_perm:[2,2,2,2] row_mask:0xf bank_mask:0xf// 00000002C930: 0BE524FA FF00AAFC
	v_mul_f32_dpp v243, v252, v147 quad_perm:[3,3,3,3] row_mask:0xf bank_mask:0xf// 00000002C938: 0BE726FA FF00FFFC
	v_mul_f32_dpp v244, v253, v148 quad_perm:[0,0,0,0] row_mask:0xf bank_mask:0xf// 00000002C940: 0BE928FA FF0000FD
	v_mul_f32_dpp v245, v253, v149 quad_perm:[1,1,1,1] row_mask:0xf bank_mask:0xf// 00000002C948: 0BEB2AFA FF0055FD
	v_mul_f32_dpp v246, v253, v150 quad_perm:[2,2,2,2] row_mask:0xf bank_mask:0xf// 00000002C950: 0BED2CFA FF00AAFD
	v_mul_f32_dpp v247, v253, v151 quad_perm:[3,3,3,3] row_mask:0xf bank_mask:0xf// 00000002C958: 0BEF2EFA FF00FFFD
	v_mul_f32_dpp v248, v254, v152 quad_perm:[0,0,0,0] row_mask:0xf bank_mask:0xf// 00000002C960: 0BF130FA FF0000FE
	v_mul_f32_dpp v249, v254, v153 quad_perm:[1,1,1,1] row_mask:0xf bank_mask:0xf// 00000002C968: 0BF332FA FF0055FE
	v_mul_f32_dpp v250, v254, v154 quad_perm:[2,2,2,2] row_mask:0xf bank_mask:0xf// 00000002C970: 0BF534FA FF00AAFE
	v_mul_f32_dpp v251, v254, v155 quad_perm:[3,3,3,3] row_mask:0xf bank_mask:0xf// 00000002C978: 0BF736FA FF00FFFE
	v_mul_f32_dpp v252, v255, v156 quad_perm:[0,0,0,0] row_mask:0xf bank_mask:0xf// 00000002C980: 0BF938FA FF0000FF
	v_mul_f32_dpp v253, v255, v157 quad_perm:[1,1,1,1] row_mask:0xf bank_mask:0xf// 00000002C988: 0BFB3AFA FF0055FF
	v_mul_f32_dpp v254, v255, v158 quad_perm:[2,2,2,2] row_mask:0xf bank_mask:0xf// 00000002C990: 0BFD3CFA FF00AAFF
	v_mul_f32_dpp v255, v255, v159 quad_perm:[3,3,3,3] row_mask:0xf bank_mask:0xf// 00000002C998: 0BFF3EFA FF00FFFF
	v_mov_b32_e32 v48, 0x358637bd                              // 00000002C9A0: 7E6002FF 358637BD
	v_max3_f32 v48, |v240|, |v241|, v48                        // 00000002C9A8: D1D30330 04C3E3F0
	v_max3_f32 v48, |v242|, |v243|, v48                        // 00000002C9B0: D1D30330 04C3E7F2
	v_max3_f32 v48, |v244|, |v245|, v48                        // 00000002C9B8: D1D30330 04C3EBF4
	v_max3_f32 v48, |v246|, |v247|, v48                        // 00000002C9C0: D1D30330 04C3EFF6
	v_max3_f32 v48, |v248|, |v249|, v48                        // 00000002C9C8: D1D30330 04C3F3F8
	v_max3_f32 v48, |v250|, |v251|, v48                        // 00000002C9D0: D1D30330 04C3F7FA
	v_max3_f32 v48, |v252|, |v253|, v48                        // 00000002C9D8: D1D30330 04C3FBFC
	v_max3_f32 v48, |v254|, |v255|, v48                        // 00000002C9E0: D1D30330 04C3FFFE
	ds_write_b32 v8, v48 offset:20992                          // 00000002C9E8: D81A5200 00003008
	v_sub_f32_e32 v51, v13, v15                                // 00000002C9F0: 04661F0D
	v_cndmask_b32_e64 v51, v51, 0, s[40:41]                    // 00000002C9F4: D1000033 00A10133
	v_mov_b32_e32 v13, v15                                     // 00000002C9FC: 7E1A030F
	v_mul_f32_e32 v51, s64, v51                                // 00000002CA00: 0A666640
	v_exp_f32_e32 v51, v51                                     // 00000002CA04: 7E664133
	s_waitcnt lgkmcnt(0)                                       // 00000002CA08: BF8CC07F
	s_barrier                                                  // 00000002CA0C: BF8A0000
	ds_read_b32 v64, v7 offset:20992                           // 00000002CA10: D86C5200 40000007
	ds_read_b32 v65, v7 offset:21056                           // 00000002CA18: D86C5240 41000007
	ds_read_b32 v66, v7 offset:21120                           // 00000002CA20: D86C5280 42000007
	ds_read_b32 v67, v7 offset:21184                           // 00000002CA28: D86C52C0 43000007
	ds_read_b32 v68, v7 offset:21248                           // 00000002CA30: D86C5300 44000007
	ds_read_b32 v69, v7 offset:21312                           // 00000002CA38: D86C5340 45000007
	ds_read_b32 v70, v7 offset:21376                           // 00000002CA40: D86C5380 46000007
	ds_read_b32 v71, v7 offset:21440                           // 00000002CA48: D86C53C0 47000007
	ds_read_b32 v72, v7 offset:21504                           // 00000002CA50: D86C5400 48000007
	ds_read_b32 v73, v7 offset:21568                           // 00000002CA58: D86C5440 49000007
	ds_read_b32 v74, v7 offset:21632                           // 00000002CA60: D86C5480 4A000007
	ds_read_b32 v75, v7 offset:21696                           // 00000002CA68: D86C54C0 4B000007
	ds_read_b32 v76, v7 offset:21760                           // 00000002CA70: D86C5500 4C000007
	ds_read_b32 v77, v7 offset:21824                           // 00000002CA78: D86C5540 4D000007
	ds_read_b32 v78, v7 offset:21888                           // 00000002CA80: D86C5580 4E000007
	ds_read_b32 v79, v7 offset:21952                           // 00000002CA88: D86C55C0 4F000007
	v_mul_f32_e32 v40, v51, v40                                // 00000002CA90: 0A505133
	v_mov_b32_e32 v15, v144                                    // 00000002CA94: 7E1E0390
	v_add_f32_e32 v15, v145, v15                               // 00000002CA98: 021E1F91
	v_add_f32_e32 v15, v146, v15                               // 00000002CA9C: 021E1F92
	v_add_f32_e32 v15, v147, v15                               // 00000002CAA0: 021E1F93
	v_add_f32_e32 v15, v148, v15                               // 00000002CAA4: 021E1F94
	v_add_f32_e32 v15, v149, v15                               // 00000002CAA8: 021E1F95
	v_add_f32_e32 v15, v150, v15                               // 00000002CAAC: 021E1F96
	v_add_f32_e32 v15, v151, v15                               // 00000002CAB0: 021E1F97
	v_add_f32_e32 v15, v152, v15                               // 00000002CAB4: 021E1F98
	v_add_f32_e32 v15, v153, v15                               // 00000002CAB8: 021E1F99
	v_add_f32_e32 v15, v154, v15                               // 00000002CABC: 021E1F9A
	v_add_f32_e32 v15, v155, v15                               // 00000002CAC0: 021E1F9B
	v_add_f32_e32 v15, v156, v15                               // 00000002CAC4: 021E1F9C
	v_add_f32_e32 v15, v157, v15                               // 00000002CAC8: 021E1F9D
	v_add_f32_e32 v15, v158, v15                               // 00000002CACC: 021E1F9E
	v_add_f32_e32 v15, v159, v15                               // 00000002CAD0: 021E1F9F
	v_add_f32_e32 v40, v15, v40                                // 00000002CAD4: 0250510F
	s_waitcnt lgkmcnt(0)                                       // 00000002CAD8: BF8CC07F
	v_max3_f32 v48, |v64|, |v65|, v48                          // 00000002CADC: D1D30330 04C28340
	v_max3_f32 v48, |v66|, |v67|, v48                          // 00000002CAE4: D1D30330 04C28742
	v_max3_f32 v48, |v68|, |v69|, v48                          // 00000002CAEC: D1D30330 04C28B44
	v_max3_f32 v48, |v70|, |v71|, v48                          // 00000002CAF4: D1D30330 04C28F46
	v_max3_f32 v48, |v72|, |v73|, v48                          // 00000002CAFC: D1D30330 04C29348
	v_max3_f32 v48, |v74|, |v75|, v48                          // 00000002CB04: D1D30330 04C2974A
	v_max3_f32 v48, |v76|, |v77|, v48                          // 00000002CB0C: D1D30330 04C29B4C
	v_max3_f32 v48, |v78|, |v79|, v48                          // 00000002CB14: D1D30330 04C29F4E
	s_nop 2                                                    // 00000002CB1C: BF800002
	v_rcp_f32_e32 v48, v48                                     // 00000002CB20: 7E604530
	s_nop 1                                                    // 00000002CB24: BF800001
	v_mul_f32_e32 v48, 0x42fe0000, v48                         // 00000002CB28: 0A6060FF 42FE0000
	v_mul_f32_e32 v144, v48, v240                              // 00000002CB30: 0B21E130
	v_mul_f32_e32 v145, v48, v241                              // 00000002CB34: 0B23E330
	v_mul_f32_e32 v146, v48, v242                              // 00000002CB38: 0B25E530
	v_mul_f32_e32 v147, v48, v243                              // 00000002CB3C: 0B27E730
	v_mul_f32_e32 v148, v48, v244                              // 00000002CB40: 0B29E930
	v_mul_f32_e32 v149, v48, v245                              // 00000002CB44: 0B2BEB30
	v_mul_f32_e32 v150, v48, v246                              // 00000002CB48: 0B2DED30
	v_mul_f32_e32 v151, v48, v247                              // 00000002CB4C: 0B2FEF30
	v_mul_f32_e32 v152, v48, v248                              // 00000002CB50: 0B31F130
	v_mul_f32_e32 v153, v48, v249                              // 00000002CB54: 0B33F330
	v_mul_f32_e32 v154, v48, v250                              // 00000002CB58: 0B35F530
	v_mul_f32_e32 v155, v48, v251                              // 00000002CB5C: 0B37F730
	v_mul_f32_e32 v156, v48, v252                              // 00000002CB60: 0B39F930
	v_mul_f32_e32 v157, v48, v253                              // 00000002CB64: 0B3BFB30
	v_mul_f32_e32 v158, v48, v254                              // 00000002CB68: 0B3DFD30
	v_mul_f32_e32 v159, v48, v255                              // 00000002CB6C: 0B3FFF30
	v_cvt_i32_f32_e32 v144, v144                               // 00000002CB70: 7F201190
	v_cvt_i32_f32_e32 v145, v145                               // 00000002CB74: 7F221191
	v_cvt_i32_f32_e32 v146, v146                               // 00000002CB78: 7F241192
	v_cvt_i32_f32_e32 v147, v147                               // 00000002CB7C: 7F261193
	v_cvt_i32_f32_e32 v148, v148                               // 00000002CB80: 7F281194
	v_cvt_i32_f32_e32 v149, v149                               // 00000002CB84: 7F2A1195
	v_cvt_i32_f32_e32 v150, v150                               // 00000002CB88: 7F2C1196
	v_cvt_i32_f32_e32 v151, v151                               // 00000002CB8C: 7F2E1197
	v_cvt_i32_f32_e32 v152, v152                               // 00000002CB90: 7F301198
	v_cvt_i32_f32_e32 v153, v153                               // 00000002CB94: 7F321199
	v_cvt_i32_f32_e32 v154, v154                               // 00000002CB98: 7F34119A
	v_cvt_i32_f32_e32 v155, v155                               // 00000002CB9C: 7F36119B
	v_cvt_i32_f32_e32 v156, v156                               // 00000002CBA0: 7F38119C
	v_cvt_i32_f32_e32 v157, v157                               // 00000002CBA4: 7F3A119D
	v_cvt_i32_f32_e32 v158, v158                               // 00000002CBA8: 7F3C119E
	v_cvt_i32_f32_e32 v159, v159                               // 00000002CBAC: 7F3E119F
	v_perm_b32 v144, v145, v144, s53                           // 00000002CBB0: D1ED0090 00D72191
	v_perm_b32 v144, v146, v144, s54                           // 00000002CBB8: D1ED0090 00DB2192
	v_perm_b32 v144, v147, v144, s55                           // 00000002CBC0: D1ED0090 00DF2193
	v_perm_b32 v145, v149, v148, s53                           // 00000002CBC8: D1ED0091 00D72995
	v_perm_b32 v145, v150, v145, s54                           // 00000002CBD0: D1ED0091 00DB2396
	v_perm_b32 v145, v151, v145, s55                           // 00000002CBD8: D1ED0091 00DF2397
	v_perm_b32 v146, v153, v152, s53                           // 00000002CBE0: D1ED0092 00D73199
	v_perm_b32 v146, v154, v146, s54                           // 00000002CBE8: D1ED0092 00DB259A
	v_perm_b32 v146, v155, v146, s55                           // 00000002CBF0: D1ED0092 00DF259B
	v_perm_b32 v147, v157, v156, s53                           // 00000002CBF8: D1ED0093 00D7399D
	v_perm_b32 v147, v158, v147, s54                           // 00000002CC00: D1ED0093 00DB279E
	v_perm_b32 v147, v159, v147, s55                           // 00000002CC08: D1ED0093 00DF279F
	ds_write_b32 v10, v144 offset:33280                        // 00000002CC10: D81A8200 0000900A
	ds_write_b32 v10, v145 offset:34304                        // 00000002CC18: D81A8600 0000910A
	ds_write_b32 v10, v146 offset:35328                        // 00000002CC20: D81A8A00 0000920A
	ds_write_b32 v10, v147 offset:36352                        // 00000002CC28: D81A8E00 0000930A
	v_add_f32_e32 v224, v224, v192                             // 00000002CC30: 03C181E0
	v_add_f32_e32 v225, v225, v193                             // 00000002CC34: 03C383E1
	v_add_f32_e32 v226, v226, v194                             // 00000002CC38: 03C585E2
	v_add_f32_e32 v227, v227, v195                             // 00000002CC3C: 03C787E3
	v_add_f32_e32 v228, v228, v196                             // 00000002CC40: 03C989E4
	v_add_f32_e32 v229, v229, v197                             // 00000002CC44: 03CB8BE5
	v_add_f32_e32 v230, v230, v198                             // 00000002CC48: 03CD8DE6
	v_add_f32_e32 v231, v231, v199                             // 00000002CC4C: 03CF8FE7
	v_rcp_f32_e32 v46, v48                                     // 00000002CC50: 7E5C4530
	s_waitcnt lgkmcnt(0)                                       // 00000002CC54: BF8CC07F
	s_barrier                                                  // 00000002CC58: BF8A0000
	ds_read_b64 v[144:145], v9 offset:33280                    // 00000002CC5C: D8EC8200 90000009
	ds_read_b64 v[146:147], v9 offset:33408                    // 00000002CC64: D8EC8280 92000009
	ds_read_b64 v[148:149], v9 offset:34304                    // 00000002CC6C: D8EC8600 94000009
	ds_read_b64 v[150:151], v9 offset:34432                    // 00000002CC74: D8EC8680 96000009
	ds_read_b64 v[152:153], v9 offset:35328                    // 00000002CC7C: D8EC8A00 98000009
	ds_read_b64 v[154:155], v9 offset:35456                    // 00000002CC84: D8EC8A80 9A000009
	ds_read_b64 v[156:157], v9 offset:36352                    // 00000002CC8C: D8EC8E00 9C000009
	ds_read_b64 v[158:159], v9 offset:36480                    // 00000002CC94: D8EC8E80 9E000009
	v_mov_b32_dpp v64, v42 row_shr:4 row_mask:0xf bank_mask:0xf// 00000002CC9C: 7E8002FA FF01142A
	v_mov_b32_dpp v65, v42 row_shl:4 row_mask:0xf bank_mask:0xf// 00000002CCA4: 7E8202FA FF01042A
	v_cndmask_b32_e64 v248, v42, v64, s[44:45]                 // 00000002CCAC: D10000F8 00B2812A
	v_cndmask_b32_e64 v249, v65, v42, s[44:45]                 // 00000002CCB4: D10000F9 00B25541
	v_mov_b32_dpp v64, v248 row_shr:8 row_mask:0xf bank_mask:0xf// 00000002CCBC: 7E8002FA FF0118F8
	v_mov_b32_dpp v65, v248 row_shl:8 row_mask:0xf bank_mask:0xf// 00000002CCC4: 7E8202FA FF0108F8
	v_mov_b32_dpp v66, v249 row_shr:8 row_mask:0xf bank_mask:0xf// 00000002CCCC: 7E8402FA FF0118F9
	v_mov_b32_dpp v67, v249 row_shl:8 row_mask:0xf bank_mask:0xf// 00000002CCD4: 7E8602FA FF0108F9
	v_mov_b32_e32 v68, v248                                    // 00000002CCDC: 7E8803F8
	v_mov_b32_e32 v69, v249                                    // 00000002CCE0: 7E8A03F9
	v_cndmask_b32_e64 v248, v68, v64, s[42:43]                 // 00000002CCE4: D10000F8 00AA8144
	v_cndmask_b32_e64 v250, v68, v65, s[78:79]                 // 00000002CCEC: D10000FA 013A8344
	v_cndmask_b32_e64 v249, v69, v66, s[42:43]                 // 00000002CCF4: D10000F9 00AA8545
	v_cndmask_b32_e64 v251, v69, v67, s[78:79]                 // 00000002CCFC: D10000FB 013A8745
	v_mov_b32_dpp v64, v57 row_shr:4 row_mask:0xf bank_mask:0xf// 00000002CD04: 7E8002FA FF011439
	v_mov_b32_dpp v65, v57 row_shl:4 row_mask:0xf bank_mask:0xf// 00000002CD0C: 7E8202FA FF010439
	v_cndmask_b32_e64 v252, v57, v64, s[44:45]                 // 00000002CD14: D10000FC 00B28139
	v_cndmask_b32_e64 v253, v65, v57, s[44:45]                 // 00000002CD1C: D10000FD 00B27341
	v_mov_b32_dpp v64, v252 row_shr:8 row_mask:0xf bank_mask:0xf// 00000002CD24: 7E8002FA FF0118FC
	v_mov_b32_dpp v65, v252 row_shl:8 row_mask:0xf bank_mask:0xf// 00000002CD2C: 7E8202FA FF0108FC
	v_mov_b32_dpp v66, v253 row_shr:8 row_mask:0xf bank_mask:0xf// 00000002CD34: 7E8402FA FF0118FD
	v_mov_b32_dpp v67, v253 row_shl:8 row_mask:0xf bank_mask:0xf// 00000002CD3C: 7E8602FA FF0108FD
	v_mov_b32_e32 v68, v252                                    // 00000002CD44: 7E8803FC
	v_mov_b32_e32 v69, v253                                    // 00000002CD48: 7E8A03FD
	v_cndmask_b32_e64 v252, v68, v64, s[42:43]                 // 00000002CD4C: D10000FC 00AA8144
	v_cndmask_b32_e64 v254, v68, v65, s[78:79]                 // 00000002CD54: D10000FE 013A8344
	v_cndmask_b32_e64 v253, v69, v66, s[42:43]                 // 00000002CD5C: D10000FD 00AA8545
	v_cndmask_b32_e64 v255, v69, v67, s[78:79]                 // 00000002CD64: D10000FF 013A8745
	v_cvt_f32_i32_e32 v160, v160                               // 00000002CD6C: 7F400BA0
	v_cvt_f32_i32_e32 v161, v161                               // 00000002CD70: 7F420BA1
	v_cvt_f32_i32_e32 v162, v162                               // 00000002CD74: 7F440BA2
	v_cvt_f32_i32_e32 v163, v163                               // 00000002CD78: 7F460BA3
	v_cvt_f32_i32_e32 v164, v164                               // 00000002CD7C: 7F480BA4
	v_cvt_f32_i32_e32 v165, v165                               // 00000002CD80: 7F4A0BA5
	v_cvt_f32_i32_e32 v166, v166                               // 00000002CD84: 7F4C0BA6
	v_cvt_f32_i32_e32 v167, v167                               // 00000002CD88: 7F4E0BA7
	v_cvt_f32_i32_e32 v168, v168                               // 00000002CD8C: 7F500BA8
	v_cvt_f32_i32_e32 v169, v169                               // 00000002CD90: 7F520BA9
	v_cvt_f32_i32_e32 v170, v170                               // 00000002CD94: 7F540BAA
	v_cvt_f32_i32_e32 v171, v171                               // 00000002CD98: 7F560BAB
	v_cvt_f32_i32_e32 v172, v172                               // 00000002CD9C: 7F580BAC
	v_cvt_f32_i32_e32 v173, v173                               // 00000002CDA0: 7F5A0BAD
	v_cvt_f32_i32_e32 v174, v174                               // 00000002CDA4: 7F5C0BAE
	v_cvt_f32_i32_e32 v175, v175                               // 00000002CDA8: 7F5E0BAF
	v_mul_f32_e32 v160, v21, v160                              // 00000002CDAC: 0B414115
	v_mul_f32_e32 v161, v21, v161                              // 00000002CDB0: 0B434315
	v_mul_f32_e32 v162, v21, v162                              // 00000002CDB4: 0B454515
	v_mul_f32_e32 v163, v21, v163                              // 00000002CDB8: 0B474715
	v_mul_f32_e32 v164, v21, v164                              // 00000002CDBC: 0B494915
	v_mul_f32_e32 v165, v21, v165                              // 00000002CDC0: 0B4B4B15
	v_mul_f32_e32 v166, v21, v166                              // 00000002CDC4: 0B4D4D15
	v_mul_f32_e32 v167, v21, v167                              // 00000002CDC8: 0B4F4F15
	v_mul_f32_e32 v168, v21, v168                              // 00000002CDCC: 0B515115
	v_mul_f32_e32 v169, v21, v169                              // 00000002CDD0: 0B535315
	v_mul_f32_e32 v170, v21, v170                              // 00000002CDD4: 0B555515
	v_mul_f32_e32 v171, v21, v171                              // 00000002CDD8: 0B575715
	v_mul_f32_e32 v172, v21, v172                              // 00000002CDDC: 0B595915
	v_mul_f32_e32 v173, v21, v173                              // 00000002CDE0: 0B5B5B15
	v_mul_f32_e32 v174, v21, v174                              // 00000002CDE4: 0B5D5D15
	v_mul_f32_e32 v175, v21, v175                              // 00000002CDE8: 0B5F5F15
	v_mul_f32_dpp v160, v248, v160 quad_perm:[0,0,0,0] row_mask:0xf bank_mask:0xf// 00000002CDEC: 0B4140FA FF0000F8
	v_mul_f32_dpp v161, v248, v161 quad_perm:[1,1,1,1] row_mask:0xf bank_mask:0xf// 00000002CDF4: 0B4342FA FF0055F8
	v_mul_f32_dpp v162, v248, v162 quad_perm:[2,2,2,2] row_mask:0xf bank_mask:0xf// 00000002CDFC: 0B4544FA FF00AAF8
	v_mul_f32_dpp v163, v248, v163 quad_perm:[3,3,3,3] row_mask:0xf bank_mask:0xf// 00000002CE04: 0B4746FA FF00FFF8
	v_mul_f32_dpp v164, v249, v164 quad_perm:[0,0,0,0] row_mask:0xf bank_mask:0xf// 00000002CE0C: 0B4948FA FF0000F9
	v_mul_f32_dpp v165, v249, v165 quad_perm:[1,1,1,1] row_mask:0xf bank_mask:0xf// 00000002CE14: 0B4B4AFA FF0055F9
	v_mul_f32_dpp v166, v249, v166 quad_perm:[2,2,2,2] row_mask:0xf bank_mask:0xf// 00000002CE1C: 0B4D4CFA FF00AAF9
	v_mul_f32_dpp v167, v249, v167 quad_perm:[3,3,3,3] row_mask:0xf bank_mask:0xf// 00000002CE24: 0B4F4EFA FF00FFF9
	v_mul_f32_dpp v168, v250, v168 quad_perm:[0,0,0,0] row_mask:0xf bank_mask:0xf// 00000002CE2C: 0B5150FA FF0000FA
	v_mul_f32_dpp v169, v250, v169 quad_perm:[1,1,1,1] row_mask:0xf bank_mask:0xf// 00000002CE34: 0B5352FA FF0055FA
	v_mul_f32_dpp v170, v250, v170 quad_perm:[2,2,2,2] row_mask:0xf bank_mask:0xf// 00000002CE3C: 0B5554FA FF00AAFA
	v_mul_f32_dpp v171, v250, v171 quad_perm:[3,3,3,3] row_mask:0xf bank_mask:0xf// 00000002CE44: 0B5756FA FF00FFFA
	v_mul_f32_dpp v172, v251, v172 quad_perm:[0,0,0,0] row_mask:0xf bank_mask:0xf// 00000002CE4C: 0B5958FA FF0000FB
	v_mul_f32_dpp v173, v251, v173 quad_perm:[1,1,1,1] row_mask:0xf bank_mask:0xf// 00000002CE54: 0B5B5AFA FF0055FB
	v_mul_f32_dpp v174, v251, v174 quad_perm:[2,2,2,2] row_mask:0xf bank_mask:0xf// 00000002CE5C: 0B5D5CFA FF00AAFB
	v_mul_f32_dpp v175, v251, v175 quad_perm:[3,3,3,3] row_mask:0xf bank_mask:0xf// 00000002CE64: 0B5F5EFA FF00FFFB
	s_cmp_le_i32 s90, s89                                      // 00000002CE6C: BF05595A
	s_cbranch_scc1 label_AB8E                                  // 00000002CE70: BF850071
	v_mov_b32_e32 v66, 0xff800000                              // 00000002CE74: 7E8402FF FF800000
	s_mov_b32 s60, s90                                         // 00000002CE7C: BEBC005A
	s_add_u32 s61, s89, 0xff                                   // 00000002CE80: 803DFF59 000000FF
	v_mov_b32_e32 v64, s61                                     // 00000002CE88: 7E80023D
	v_lshrrev_b32_e32 v240, 4, v0                              // 00000002CE8C: 21E00084
	v_mul_i32_i24_e32 v240, 4, v240                            // 00000002CE90: 0DE1E084
	v_add_u32_e32 v240, s60, v240                              // 00000002CE94: 69E1E03C
	s_mov_b32 s61, 3                                           // 00000002CE98: BEBD0083
	s_mul_i32 s60, 16, s7                                      // 00000002CE9C: 923C0790
	v_sub_u32_e64 v240, v240, s61                              // 00000002CEA0: D13500F0 00007BF0
	v_add_u32_e32 v240, s60, v240                              // 00000002CEA8: 69E1E03C
	v_add_u32_e32 v241, 1, v240                                // 00000002CEAC: 69E3E081
	v_add_u32_e32 v242, 2, v240                                // 00000002CEB0: 69E5E082
	v_add_u32_e32 v243, 3, v240                                // 00000002CEB4: 69E7E083
	v_cmp_le_u32_e64 s[40:41], v240, v64                       // 00000002CEB8: D0CB0028 000281F0
	v_add_u32_e32 v240, 64, v240                               // 00000002CEC0: 69E1E0C0
	s_nop 0                                                    // 00000002CEC4: BF800000
	v_cndmask_b32_e64 v160, v66, v160, s[40:41]                // 00000002CEC8: D10000A0 00A34142
	v_cmp_le_u32_e64 s[40:41], v241, v64                       // 00000002CED0: D0CB0028 000281F1
	v_add_u32_e32 v241, 64, v241                               // 00000002CED8: 69E3E2C0
	s_nop 0                                                    // 00000002CEDC: BF800000
	v_cndmask_b32_e64 v161, v66, v161, s[40:41]                // 00000002CEE0: D10000A1 00A34342
	v_cmp_le_u32_e64 s[40:41], v242, v64                       // 00000002CEE8: D0CB0028 000281F2
	v_add_u32_e32 v242, 64, v242                               // 00000002CEF0: 69E5E4C0
	s_nop 0                                                    // 00000002CEF4: BF800000
	v_cndmask_b32_e64 v162, v66, v162, s[40:41]                // 00000002CEF8: D10000A2 00A34542
	v_cmp_le_u32_e64 s[40:41], v243, v64                       // 00000002CF00: D0CB0028 000281F3
	v_add_u32_e32 v243, 64, v243                               // 00000002CF08: 69E7E6C0
	s_nop 0                                                    // 00000002CF0C: BF800000
	v_cndmask_b32_e64 v163, v66, v163, s[40:41]                // 00000002CF10: D10000A3 00A34742
	v_cmp_le_u32_e64 s[40:41], v240, v64                       // 00000002CF18: D0CB0028 000281F0
	v_add_u32_e32 v240, 64, v240                               // 00000002CF20: 69E1E0C0
	s_nop 0                                                    // 00000002CF24: BF800000
	v_cndmask_b32_e64 v164, v66, v164, s[40:41]                // 00000002CF28: D10000A4 00A34942
	v_cmp_le_u32_e64 s[40:41], v241, v64                       // 00000002CF30: D0CB0028 000281F1
	v_add_u32_e32 v241, 64, v241                               // 00000002CF38: 69E3E2C0
	s_nop 0                                                    // 00000002CF3C: BF800000
	v_cndmask_b32_e64 v165, v66, v165, s[40:41]                // 00000002CF40: D10000A5 00A34B42
	v_cmp_le_u32_e64 s[40:41], v242, v64                       // 00000002CF48: D0CB0028 000281F2
	v_add_u32_e32 v242, 64, v242                               // 00000002CF50: 69E5E4C0
	s_nop 0                                                    // 00000002CF54: BF800000
	v_cndmask_b32_e64 v166, v66, v166, s[40:41]                // 00000002CF58: D10000A6 00A34D42
	v_cmp_le_u32_e64 s[40:41], v243, v64                       // 00000002CF60: D0CB0028 000281F3
	v_add_u32_e32 v243, 64, v243                               // 00000002CF68: 69E7E6C0
	s_nop 0                                                    // 00000002CF6C: BF800000
	v_cndmask_b32_e64 v167, v66, v167, s[40:41]                // 00000002CF70: D10000A7 00A34F42
	v_cmp_le_u32_e64 s[40:41], v240, v64                       // 00000002CF78: D0CB0028 000281F0
	v_add_u32_e32 v240, 64, v240                               // 00000002CF80: 69E1E0C0
	s_nop 0                                                    // 00000002CF84: BF800000
	v_cndmask_b32_e64 v168, v66, v168, s[40:41]                // 00000002CF88: D10000A8 00A35142
	v_cmp_le_u32_e64 s[40:41], v241, v64                       // 00000002CF90: D0CB0028 000281F1
	v_add_u32_e32 v241, 64, v241                               // 00000002CF98: 69E3E2C0
	s_nop 0                                                    // 00000002CF9C: BF800000
	v_cndmask_b32_e64 v169, v66, v169, s[40:41]                // 00000002CFA0: D10000A9 00A35342
	v_cmp_le_u32_e64 s[40:41], v242, v64                       // 00000002CFA8: D0CB0028 000281F2
	v_add_u32_e32 v242, 64, v242                               // 00000002CFB0: 69E5E4C0
	s_nop 0                                                    // 00000002CFB4: BF800000
	v_cndmask_b32_e64 v170, v66, v170, s[40:41]                // 00000002CFB8: D10000AA 00A35542
	v_cmp_le_u32_e64 s[40:41], v243, v64                       // 00000002CFC0: D0CB0028 000281F3
	v_add_u32_e32 v243, 64, v243                               // 00000002CFC8: 69E7E6C0
	s_nop 0                                                    // 00000002CFCC: BF800000
	v_cndmask_b32_e64 v171, v66, v171, s[40:41]                // 00000002CFD0: D10000AB 00A35742
	v_cmp_le_u32_e64 s[40:41], v240, v64                       // 00000002CFD8: D0CB0028 000281F0
	v_add_u32_e32 v240, 64, v240                               // 00000002CFE0: 69E1E0C0
	s_nop 0                                                    // 00000002CFE4: BF800000
	v_cndmask_b32_e64 v172, v66, v172, s[40:41]                // 00000002CFE8: D10000AC 00A35942
	v_cmp_le_u32_e64 s[40:41], v241, v64                       // 00000002CFF0: D0CB0028 000281F1
	v_add_u32_e32 v241, 64, v241                               // 00000002CFF8: 69E3E2C0
	s_nop 0                                                    // 00000002CFFC: BF800000
	v_cndmask_b32_e64 v173, v66, v173, s[40:41]                // 00000002D000: D10000AD 00A35B42
	v_cmp_le_u32_e64 s[40:41], v242, v64                       // 00000002D008: D0CB0028 000281F2
	v_add_u32_e32 v242, 64, v242                               // 00000002D010: 69E5E4C0
	s_nop 0                                                    // 00000002D014: BF800000
	v_cndmask_b32_e64 v174, v66, v174, s[40:41]                // 00000002D018: D10000AE 00A35D42
	v_cmp_le_u32_e64 s[40:41], v243, v64                       // 00000002D020: D0CB0028 000281F3
	v_add_u32_e32 v243, 64, v243                               // 00000002D028: 69E7E6C0
	s_nop 0                                                    // 00000002D02C: BF800000
	v_cndmask_b32_e64 v175, v66, v175, s[40:41]                // 00000002D030: D10000AF 00A35F42

000000000002d038 <label_AB8E>:
	s_add_u32 s90, s91, s90                                    // 00000002D038: 805A5A5B
	s_and_b32 s60, s72, 0xff                                   // 00000002D03C: 863CFF48 000000FF
	v_mov_b32_e32 v65, s60                                     // 00000002D044: 7E82023C
	v_lshrrev_b32_e32 v240, 4, v0                              // 00000002D048: 21E00084
	v_mul_i32_i24_e32 v240, 4, v240                            // 00000002D04C: 0DE1E084
	s_mul_i32 s60, s7, 16                                      // 00000002D050: 923C9007
	v_add_u32_e32 v240, s60, v240                              // 00000002D054: 69E1E03C
	v_add_u32_e32 v241, 1, v240                                // 00000002D058: 69E3E081
	v_add_u32_e32 v242, 2, v240                                // 00000002D05C: 69E5E082
	v_add_u32_e32 v243, 3, v240                                // 00000002D060: 69E7E083
	v_mov_b32_e32 v64, 0xff800000                              // 00000002D064: 7E8002FF FF800000
	v_cmp_lt_u32_e64 s[40:41], v240, v65                       // 00000002D06C: D0C90028 000283F0
	v_add_u32_e32 v240, 64, v240                               // 00000002D074: 69E1E0C0
	s_nop 0                                                    // 00000002D078: BF800000
	v_cndmask_b32_e64 v160, v64, v160, s[40:41]                // 00000002D07C: D10000A0 00A34140
	v_cmp_lt_u32_e64 s[40:41], v241, v65                       // 00000002D084: D0C90028 000283F1
	v_add_u32_e32 v241, 64, v241                               // 00000002D08C: 69E3E2C0
	s_nop 0                                                    // 00000002D090: BF800000
	v_cndmask_b32_e64 v161, v64, v161, s[40:41]                // 00000002D094: D10000A1 00A34340
	v_cmp_lt_u32_e64 s[40:41], v242, v65                       // 00000002D09C: D0C90028 000283F2
	v_add_u32_e32 v242, 64, v242                               // 00000002D0A4: 69E5E4C0
	s_nop 0                                                    // 00000002D0A8: BF800000
	v_cndmask_b32_e64 v162, v64, v162, s[40:41]                // 00000002D0AC: D10000A2 00A34540
	v_cmp_lt_u32_e64 s[40:41], v243, v65                       // 00000002D0B4: D0C90028 000283F3
	v_add_u32_e32 v243, 64, v243                               // 00000002D0BC: 69E7E6C0
	s_nop 0                                                    // 00000002D0C0: BF800000
	v_cndmask_b32_e64 v163, v64, v163, s[40:41]                // 00000002D0C4: D10000A3 00A34740
	v_cmp_lt_u32_e64 s[40:41], v240, v65                       // 00000002D0CC: D0C90028 000283F0
	v_add_u32_e32 v240, 64, v240                               // 00000002D0D4: 69E1E0C0
	s_nop 0                                                    // 00000002D0D8: BF800000
	v_cndmask_b32_e64 v164, v64, v164, s[40:41]                // 00000002D0DC: D10000A4 00A34940
	v_cmp_lt_u32_e64 s[40:41], v241, v65                       // 00000002D0E4: D0C90028 000283F1
	v_add_u32_e32 v241, 64, v241                               // 00000002D0EC: 69E3E2C0
	s_nop 0                                                    // 00000002D0F0: BF800000
	v_cndmask_b32_e64 v165, v64, v165, s[40:41]                // 00000002D0F4: D10000A5 00A34B40
	v_cmp_lt_u32_e64 s[40:41], v242, v65                       // 00000002D0FC: D0C90028 000283F2
	v_add_u32_e32 v242, 64, v242                               // 00000002D104: 69E5E4C0
	s_nop 0                                                    // 00000002D108: BF800000
	v_cndmask_b32_e64 v166, v64, v166, s[40:41]                // 00000002D10C: D10000A6 00A34D40
	v_cmp_lt_u32_e64 s[40:41], v243, v65                       // 00000002D114: D0C90028 000283F3
	v_add_u32_e32 v243, 64, v243                               // 00000002D11C: 69E7E6C0
	s_nop 0                                                    // 00000002D120: BF800000
	v_cndmask_b32_e64 v167, v64, v167, s[40:41]                // 00000002D124: D10000A7 00A34F40
	v_cmp_lt_u32_e64 s[40:41], v240, v65                       // 00000002D12C: D0C90028 000283F0
	v_add_u32_e32 v240, 64, v240                               // 00000002D134: 69E1E0C0
	s_nop 0                                                    // 00000002D138: BF800000
	v_cndmask_b32_e64 v168, v64, v168, s[40:41]                // 00000002D13C: D10000A8 00A35140
	v_cmp_lt_u32_e64 s[40:41], v241, v65                       // 00000002D144: D0C90028 000283F1
	v_add_u32_e32 v241, 64, v241                               // 00000002D14C: 69E3E2C0
	s_nop 0                                                    // 00000002D150: BF800000
	v_cndmask_b32_e64 v169, v64, v169, s[40:41]                // 00000002D154: D10000A9 00A35340
	v_cmp_lt_u32_e64 s[40:41], v242, v65                       // 00000002D15C: D0C90028 000283F2
	v_add_u32_e32 v242, 64, v242                               // 00000002D164: 69E5E4C0
	s_nop 0                                                    // 00000002D168: BF800000
	v_cndmask_b32_e64 v170, v64, v170, s[40:41]                // 00000002D16C: D10000AA 00A35540
	v_cmp_lt_u32_e64 s[40:41], v243, v65                       // 00000002D174: D0C90028 000283F3
	v_add_u32_e32 v243, 64, v243                               // 00000002D17C: 69E7E6C0
	s_nop 0                                                    // 00000002D180: BF800000
	v_cndmask_b32_e64 v171, v64, v171, s[40:41]                // 00000002D184: D10000AB 00A35740
	v_cmp_lt_u32_e64 s[40:41], v240, v65                       // 00000002D18C: D0C90028 000283F0
	v_add_u32_e32 v240, 64, v240                               // 00000002D194: 69E1E0C0
	s_nop 0                                                    // 00000002D198: BF800000
	v_cndmask_b32_e64 v172, v64, v172, s[40:41]                // 00000002D19C: D10000AC 00A35940
	v_cmp_lt_u32_e64 s[40:41], v241, v65                       // 00000002D1A4: D0C90028 000283F1
	v_add_u32_e32 v241, 64, v241                               // 00000002D1AC: 69E3E2C0
	s_nop 0                                                    // 00000002D1B0: BF800000
	v_cndmask_b32_e64 v173, v64, v173, s[40:41]                // 00000002D1B4: D10000AD 00A35B40
	v_cmp_lt_u32_e64 s[40:41], v242, v65                       // 00000002D1BC: D0C90028 000283F2
	v_add_u32_e32 v242, 64, v242                               // 00000002D1C4: 69E5E4C0
	s_nop 0                                                    // 00000002D1C8: BF800000
	v_cndmask_b32_e64 v174, v64, v174, s[40:41]                // 00000002D1CC: D10000AE 00A35D40
	v_cmp_lt_u32_e64 s[40:41], v243, v65                       // 00000002D1D4: D0C90028 000283F3
	v_add_u32_e32 v243, 64, v243                               // 00000002D1DC: 69E7E6C0
	s_nop 0                                                    // 00000002D1E0: BF800000
	v_cndmask_b32_e64 v175, v64, v175, s[40:41]                // 00000002D1E4: D10000AF 00A35F40
	v_mov_b32_e32 v48, v160                                    // 00000002D1EC: 7E6003A0
	v_max3_f32 v48, v160, v161, v48                            // 00000002D1F0: D1D30030 04C343A0
	v_max3_f32 v48, v162, v163, v48                            // 00000002D1F8: D1D30030 04C347A2
	v_max3_f32 v48, v164, v165, v48                            // 00000002D200: D1D30030 04C34BA4
	v_max3_f32 v48, v166, v167, v48                            // 00000002D208: D1D30030 04C34FA6
	v_max3_f32 v48, v168, v169, v48                            // 00000002D210: D1D30030 04C353A8
	v_max3_f32 v48, v170, v171, v48                            // 00000002D218: D1D30030 04C357AA
	v_max3_f32 v48, v172, v173, v48                            // 00000002D220: D1D30030 04C35BAC
	v_max3_f32 v48, v174, v175, v48                            // 00000002D228: D1D30030 04C35FAE
	ds_write_b32 v8, v48 offset:16896                          // 00000002D230: D81A4200 00003008
	v_mul_f32_e32 v232, v52, v232                              // 00000002D238: 0BD1D134
	v_mul_f32_e32 v233, v52, v233                              // 00000002D23C: 0BD3D334
	v_mul_f32_e32 v234, v52, v234                              // 00000002D240: 0BD5D534
	v_mul_f32_e32 v235, v52, v235                              // 00000002D244: 0BD7D734
	v_mul_f32_e32 v236, v52, v236                              // 00000002D248: 0BD9D934
	v_mul_f32_e32 v237, v52, v237                              // 00000002D24C: 0BDBDB34
	v_mul_f32_e32 v238, v52, v238                              // 00000002D250: 0BDDDD34
	v_mul_f32_e32 v239, v52, v239                              // 00000002D254: 0BDFDF34
	s_waitcnt lgkmcnt(0)                                       // 00000002D258: BF8CC07F
	s_barrier                                                  // 00000002D25C: BF8A0000
	ds_read_b32 v64, v7 offset:16896                           // 00000002D260: D86C4200 40000007
	ds_read_b32 v65, v7 offset:16960                           // 00000002D268: D86C4240 41000007
	ds_read_b32 v66, v7 offset:17024                           // 00000002D270: D86C4280 42000007
	ds_read_b32 v67, v7 offset:17088                           // 00000002D278: D86C42C0 43000007
	ds_read_b32 v68, v7 offset:17152                           // 00000002D280: D86C4300 44000007
	ds_read_b32 v69, v7 offset:17216                           // 00000002D288: D86C4340 45000007
	ds_read_b32 v70, v7 offset:17280                           // 00000002D290: D86C4380 46000007
	ds_read_b32 v71, v7 offset:17344                           // 00000002D298: D86C43C0 47000007
	ds_read_b32 v72, v7 offset:17408                           // 00000002D2A0: D86C4400 48000007
	ds_read_b32 v73, v7 offset:17472                           // 00000002D2A8: D86C4440 49000007
	ds_read_b32 v74, v7 offset:17536                           // 00000002D2B0: D86C4480 4A000007
	ds_read_b32 v75, v7 offset:17600                           // 00000002D2B8: D86C44C0 4B000007
	ds_read_b32 v76, v7 offset:17664                           // 00000002D2C0: D86C4500 4C000007
	ds_read_b32 v77, v7 offset:17728                           // 00000002D2C8: D86C4540 4D000007
	ds_read_b32 v78, v7 offset:17792                           // 00000002D2D0: D86C4580 4E000007
	ds_read_b32 v79, v7 offset:17856                           // 00000002D2D8: D86C45C0 4F000007
	v_cvt_f32_i32_e32 v200, v200                               // 00000002D2E0: 7F900BC8
	v_cvt_f32_i32_e32 v201, v201                               // 00000002D2E4: 7F920BC9
	v_cvt_f32_i32_e32 v202, v202                               // 00000002D2E8: 7F940BCA
	v_cvt_f32_i32_e32 v203, v203                               // 00000002D2EC: 7F960BCB
	v_cvt_f32_i32_e32 v204, v204                               // 00000002D2F0: 7F980BCC
	v_cvt_f32_i32_e32 v205, v205                               // 00000002D2F4: 7F9A0BCD
	v_cvt_f32_i32_e32 v206, v206                               // 00000002D2F8: 7F9C0BCE
	v_cvt_f32_i32_e32 v207, v207                               // 00000002D2FC: 7F9E0BCF
	v_mul_f32_e32 v200, v47, v200                              // 00000002D300: 0B91912F
	v_mul_f32_e32 v201, v47, v201                              // 00000002D304: 0B93932F
	v_mul_f32_e32 v202, v47, v202                              // 00000002D308: 0B95952F
	v_mul_f32_e32 v203, v47, v203                              // 00000002D30C: 0B97972F
	v_mul_f32_e32 v204, v47, v204                              // 00000002D310: 0B99992F
	v_mul_f32_e32 v205, v47, v205                              // 00000002D314: 0B9B9B2F
	v_mul_f32_e32 v206, v47, v206                              // 00000002D318: 0B9D9D2F
	v_mul_f32_e32 v207, v47, v207                              // 00000002D31C: 0B9F9F2F
	s_waitcnt lgkmcnt(0)                                       // 00000002D320: BF8CC07F
	v_max3_f32 v48, v64, v65, v48                              // 00000002D324: D1D30030 04C28340
	v_max3_f32 v48, v66, v67, v48                              // 00000002D32C: D1D30030 04C28742
	v_max3_f32 v48, v68, v69, v48                              // 00000002D334: D1D30030 04C28B44
	v_max3_f32 v48, v70, v71, v48                              // 00000002D33C: D1D30030 04C28F46
	v_max3_f32 v48, v72, v73, v48                              // 00000002D344: D1D30030 04C29348
	v_max3_f32 v48, v74, v75, v48                              // 00000002D34C: D1D30030 04C2974A
	v_max3_f32 v48, v76, v77, v48                              // 00000002D354: D1D30030 04C29B4C
	v_max3_f32 v48, v78, v79, v48                              // 00000002D35C: D1D30030 04C29F4E
	v_mov_b32_e32 v64, 0xff800000                              // 00000002D364: 7E8002FF FF800000
	v_cmp_eq_u32_e64 s[40:41], v64, v14                        // 00000002D36C: D0CA0028 00021D40
	s_nop 1                                                    // 00000002D374: BF800001
	v_max_f32_e32 v15, v48, v14                                // 00000002D378: 161E1D30
	v_mul_f32_e32 v53, s64, v15                                // 00000002D37C: 0A6A1E40
	v_fma_f32 v160, v160, s64, -v53                            // 00000002D380: D1CB00A0 84D481A0
	v_fma_f32 v161, v161, s64, -v53                            // 00000002D388: D1CB00A1 84D481A1
	v_fma_f32 v162, v162, s64, -v53                            // 00000002D390: D1CB00A2 84D481A2
	v_fma_f32 v163, v163, s64, -v53                            // 00000002D398: D1CB00A3 84D481A3
	v_fma_f32 v164, v164, s64, -v53                            // 00000002D3A0: D1CB00A4 84D481A4
	v_fma_f32 v165, v165, s64, -v53                            // 00000002D3A8: D1CB00A5 84D481A5
	v_fma_f32 v166, v166, s64, -v53                            // 00000002D3B0: D1CB00A6 84D481A6
	v_fma_f32 v167, v167, s64, -v53                            // 00000002D3B8: D1CB00A7 84D481A7
	v_fma_f32 v168, v168, s64, -v53                            // 00000002D3C0: D1CB00A8 84D481A8
	v_fma_f32 v169, v169, s64, -v53                            // 00000002D3C8: D1CB00A9 84D481A9
	v_fma_f32 v170, v170, s64, -v53                            // 00000002D3D0: D1CB00AA 84D481AA
	v_fma_f32 v171, v171, s64, -v53                            // 00000002D3D8: D1CB00AB 84D481AB
	v_fma_f32 v172, v172, s64, -v53                            // 00000002D3E0: D1CB00AC 84D481AC
	v_fma_f32 v173, v173, s64, -v53                            // 00000002D3E8: D1CB00AD 84D481AD
	v_fma_f32 v174, v174, s64, -v53                            // 00000002D3F0: D1CB00AE 84D481AE
	v_fma_f32 v175, v175, s64, -v53                            // 00000002D3F8: D1CB00AF 84D481AF
	v_exp_f32_e32 v160, v160                                   // 00000002D400: 7F4041A0
	v_exp_f32_e32 v161, v161                                   // 00000002D404: 7F4241A1
	v_exp_f32_e32 v162, v162                                   // 00000002D408: 7F4441A2
	v_exp_f32_e32 v163, v163                                   // 00000002D40C: 7F4641A3
	v_exp_f32_e32 v164, v164                                   // 00000002D410: 7F4841A4
	v_exp_f32_e32 v165, v165                                   // 00000002D414: 7F4A41A5
	v_exp_f32_e32 v166, v166                                   // 00000002D418: 7F4C41A6
	v_exp_f32_e32 v167, v167                                   // 00000002D41C: 7F4E41A7
	v_exp_f32_e32 v168, v168                                   // 00000002D420: 7F5041A8
	v_exp_f32_e32 v169, v169                                   // 00000002D424: 7F5241A9
	v_exp_f32_e32 v170, v170                                   // 00000002D428: 7F5441AA
	v_exp_f32_e32 v171, v171                                   // 00000002D42C: 7F5641AB
	v_exp_f32_e32 v172, v172                                   // 00000002D430: 7F5841AC
	v_exp_f32_e32 v173, v173                                   // 00000002D434: 7F5A41AD
	v_exp_f32_e32 v174, v174                                   // 00000002D438: 7F5C41AE
	v_exp_f32_e32 v175, v175                                   // 00000002D43C: 7F5E41AF
	v_mul_f32_dpp v240, v252, v160 quad_perm:[0,0,0,0] row_mask:0xf bank_mask:0xf// 00000002D440: 0BE140FA FF0000FC
	v_mul_f32_dpp v241, v252, v161 quad_perm:[1,1,1,1] row_mask:0xf bank_mask:0xf// 00000002D448: 0BE342FA FF0055FC
	v_mul_f32_dpp v242, v252, v162 quad_perm:[2,2,2,2] row_mask:0xf bank_mask:0xf// 00000002D450: 0BE544FA FF00AAFC
	v_mul_f32_dpp v243, v252, v163 quad_perm:[3,3,3,3] row_mask:0xf bank_mask:0xf// 00000002D458: 0BE746FA FF00FFFC
	v_mul_f32_dpp v244, v253, v164 quad_perm:[0,0,0,0] row_mask:0xf bank_mask:0xf// 00000002D460: 0BE948FA FF0000FD
	v_mul_f32_dpp v245, v253, v165 quad_perm:[1,1,1,1] row_mask:0xf bank_mask:0xf// 00000002D468: 0BEB4AFA FF0055FD
	v_mul_f32_dpp v246, v253, v166 quad_perm:[2,2,2,2] row_mask:0xf bank_mask:0xf// 00000002D470: 0BED4CFA FF00AAFD
	v_mul_f32_dpp v247, v253, v167 quad_perm:[3,3,3,3] row_mask:0xf bank_mask:0xf// 00000002D478: 0BEF4EFA FF00FFFD
	v_mul_f32_dpp v248, v254, v168 quad_perm:[0,0,0,0] row_mask:0xf bank_mask:0xf// 00000002D480: 0BF150FA FF0000FE
	v_mul_f32_dpp v249, v254, v169 quad_perm:[1,1,1,1] row_mask:0xf bank_mask:0xf// 00000002D488: 0BF352FA FF0055FE
	v_mul_f32_dpp v250, v254, v170 quad_perm:[2,2,2,2] row_mask:0xf bank_mask:0xf// 00000002D490: 0BF554FA FF00AAFE
	v_mul_f32_dpp v251, v254, v171 quad_perm:[3,3,3,3] row_mask:0xf bank_mask:0xf// 00000002D498: 0BF756FA FF00FFFE
	v_mul_f32_dpp v252, v255, v172 quad_perm:[0,0,0,0] row_mask:0xf bank_mask:0xf// 00000002D4A0: 0BF958FA FF0000FF
	v_mul_f32_dpp v253, v255, v173 quad_perm:[1,1,1,1] row_mask:0xf bank_mask:0xf// 00000002D4A8: 0BFB5AFA FF0055FF
	v_mul_f32_dpp v254, v255, v174 quad_perm:[2,2,2,2] row_mask:0xf bank_mask:0xf// 00000002D4B0: 0BFD5CFA FF00AAFF
	v_mul_f32_dpp v255, v255, v175 quad_perm:[3,3,3,3] row_mask:0xf bank_mask:0xf// 00000002D4B8: 0BFF5EFA FF00FFFF
	v_mov_b32_e32 v48, 0x358637bd                              // 00000002D4C0: 7E6002FF 358637BD
	v_max3_f32 v48, |v240|, |v241|, v48                        // 00000002D4C8: D1D30330 04C3E3F0
	v_max3_f32 v48, |v242|, |v243|, v48                        // 00000002D4D0: D1D30330 04C3E7F2
	v_max3_f32 v48, |v244|, |v245|, v48                        // 00000002D4D8: D1D30330 04C3EBF4
	v_max3_f32 v48, |v246|, |v247|, v48                        // 00000002D4E0: D1D30330 04C3EFF6
	v_max3_f32 v48, |v248|, |v249|, v48                        // 00000002D4E8: D1D30330 04C3F3F8
	v_max3_f32 v48, |v250|, |v251|, v48                        // 00000002D4F0: D1D30330 04C3F7FA
	v_max3_f32 v48, |v252|, |v253|, v48                        // 00000002D4F8: D1D30330 04C3FBFC
	v_max3_f32 v48, |v254|, |v255|, v48                        // 00000002D500: D1D30330 04C3FFFE
	ds_write_b32 v8, v48 offset:20992                          // 00000002D508: D81A5200 00003008
	v_sub_f32_e32 v52, v14, v15                                // 00000002D510: 04681F0E
	v_cndmask_b32_e64 v52, v52, 0, s[40:41]                    // 00000002D514: D1000034 00A10134
	v_mov_b32_e32 v14, v15                                     // 00000002D51C: 7E1C030F
	v_mul_f32_e32 v52, s64, v52                                // 00000002D520: 0A686840
	v_exp_f32_e32 v52, v52                                     // 00000002D524: 7E684134
	s_waitcnt lgkmcnt(0)                                       // 00000002D528: BF8CC07F
	s_barrier                                                  // 00000002D52C: BF8A0000
	ds_read_b32 v64, v7 offset:20992                           // 00000002D530: D86C5200 40000007
	ds_read_b32 v65, v7 offset:21056                           // 00000002D538: D86C5240 41000007
	ds_read_b32 v66, v7 offset:21120                           // 00000002D540: D86C5280 42000007
	ds_read_b32 v67, v7 offset:21184                           // 00000002D548: D86C52C0 43000007
	ds_read_b32 v68, v7 offset:21248                           // 00000002D550: D86C5300 44000007
	ds_read_b32 v69, v7 offset:21312                           // 00000002D558: D86C5340 45000007
	ds_read_b32 v70, v7 offset:21376                           // 00000002D560: D86C5380 46000007
	ds_read_b32 v71, v7 offset:21440                           // 00000002D568: D86C53C0 47000007
	ds_read_b32 v72, v7 offset:21504                           // 00000002D570: D86C5400 48000007
	ds_read_b32 v73, v7 offset:21568                           // 00000002D578: D86C5440 49000007
	ds_read_b32 v74, v7 offset:21632                           // 00000002D580: D86C5480 4A000007
	ds_read_b32 v75, v7 offset:21696                           // 00000002D588: D86C54C0 4B000007
	ds_read_b32 v76, v7 offset:21760                           // 00000002D590: D86C5500 4C000007
	ds_read_b32 v77, v7 offset:21824                           // 00000002D598: D86C5540 4D000007
	ds_read_b32 v78, v7 offset:21888                           // 00000002D5A0: D86C5580 4E000007
	ds_read_b32 v79, v7 offset:21952                           // 00000002D5A8: D86C55C0 4F000007
	v_mul_f32_e32 v41, v52, v41                                // 00000002D5B0: 0A525334
	v_mov_b32_e32 v15, v160                                    // 00000002D5B4: 7E1E03A0
	v_add_f32_e32 v15, v161, v15                               // 00000002D5B8: 021E1FA1
	v_add_f32_e32 v15, v162, v15                               // 00000002D5BC: 021E1FA2
	v_add_f32_e32 v15, v163, v15                               // 00000002D5C0: 021E1FA3
	v_add_f32_e32 v15, v164, v15                               // 00000002D5C4: 021E1FA4
	v_add_f32_e32 v15, v165, v15                               // 00000002D5C8: 021E1FA5
	v_add_f32_e32 v15, v166, v15                               // 00000002D5CC: 021E1FA6
	v_add_f32_e32 v15, v167, v15                               // 00000002D5D0: 021E1FA7
	v_add_f32_e32 v15, v168, v15                               // 00000002D5D4: 021E1FA8
	v_add_f32_e32 v15, v169, v15                               // 00000002D5D8: 021E1FA9
	v_add_f32_e32 v15, v170, v15                               // 00000002D5DC: 021E1FAA
	v_add_f32_e32 v15, v171, v15                               // 00000002D5E0: 021E1FAB
	v_add_f32_e32 v15, v172, v15                               // 00000002D5E4: 021E1FAC
	v_add_f32_e32 v15, v173, v15                               // 00000002D5E8: 021E1FAD
	v_add_f32_e32 v15, v174, v15                               // 00000002D5EC: 021E1FAE
	v_add_f32_e32 v15, v175, v15                               // 00000002D5F0: 021E1FAF
	v_add_f32_e32 v41, v15, v41                                // 00000002D5F4: 0252530F
	s_waitcnt lgkmcnt(0)                                       // 00000002D5F8: BF8CC07F
	v_max3_f32 v48, |v64|, |v65|, v48                          // 00000002D5FC: D1D30330 04C28340
	v_max3_f32 v48, |v66|, |v67|, v48                          // 00000002D604: D1D30330 04C28742
	v_max3_f32 v48, |v68|, |v69|, v48                          // 00000002D60C: D1D30330 04C28B44
	v_max3_f32 v48, |v70|, |v71|, v48                          // 00000002D614: D1D30330 04C28F46
	v_max3_f32 v48, |v72|, |v73|, v48                          // 00000002D61C: D1D30330 04C29348
	v_max3_f32 v48, |v74|, |v75|, v48                          // 00000002D624: D1D30330 04C2974A
	v_max3_f32 v48, |v76|, |v77|, v48                          // 00000002D62C: D1D30330 04C29B4C
	v_max3_f32 v48, |v78|, |v79|, v48                          // 00000002D634: D1D30330 04C29F4E
	s_nop 2                                                    // 00000002D63C: BF800002
	v_rcp_f32_e32 v48, v48                                     // 00000002D640: 7E604530
	s_nop 1                                                    // 00000002D644: BF800001
	v_mul_f32_e32 v48, 0x42fe0000, v48                         // 00000002D648: 0A6060FF 42FE0000
	v_mul_f32_e32 v160, v48, v240                              // 00000002D650: 0B41E130
	v_mul_f32_e32 v161, v48, v241                              // 00000002D654: 0B43E330
	v_mul_f32_e32 v162, v48, v242                              // 00000002D658: 0B45E530
	v_mul_f32_e32 v163, v48, v243                              // 00000002D65C: 0B47E730
	v_mul_f32_e32 v164, v48, v244                              // 00000002D660: 0B49E930
	v_mul_f32_e32 v165, v48, v245                              // 00000002D664: 0B4BEB30
	v_mul_f32_e32 v166, v48, v246                              // 00000002D668: 0B4DED30
	v_mul_f32_e32 v167, v48, v247                              // 00000002D66C: 0B4FEF30
	v_mul_f32_e32 v168, v48, v248                              // 00000002D670: 0B51F130
	v_mul_f32_e32 v169, v48, v249                              // 00000002D674: 0B53F330
	v_mul_f32_e32 v170, v48, v250                              // 00000002D678: 0B55F530
	v_mul_f32_e32 v171, v48, v251                              // 00000002D67C: 0B57F730
	v_mul_f32_e32 v172, v48, v252                              // 00000002D680: 0B59F930
	v_mul_f32_e32 v173, v48, v253                              // 00000002D684: 0B5BFB30
	v_mul_f32_e32 v174, v48, v254                              // 00000002D688: 0B5DFD30
	v_mul_f32_e32 v175, v48, v255                              // 00000002D68C: 0B5FFF30
	v_cvt_i32_f32_e32 v160, v160                               // 00000002D690: 7F4011A0
	v_cvt_i32_f32_e32 v161, v161                               // 00000002D694: 7F4211A1
	v_cvt_i32_f32_e32 v162, v162                               // 00000002D698: 7F4411A2
	v_cvt_i32_f32_e32 v163, v163                               // 00000002D69C: 7F4611A3
	v_cvt_i32_f32_e32 v164, v164                               // 00000002D6A0: 7F4811A4
	v_cvt_i32_f32_e32 v165, v165                               // 00000002D6A4: 7F4A11A5
	v_cvt_i32_f32_e32 v166, v166                               // 00000002D6A8: 7F4C11A6
	v_cvt_i32_f32_e32 v167, v167                               // 00000002D6AC: 7F4E11A7
	v_cvt_i32_f32_e32 v168, v168                               // 00000002D6B0: 7F5011A8
	v_cvt_i32_f32_e32 v169, v169                               // 00000002D6B4: 7F5211A9
	v_cvt_i32_f32_e32 v170, v170                               // 00000002D6B8: 7F5411AA
	v_cvt_i32_f32_e32 v171, v171                               // 00000002D6BC: 7F5611AB
	v_cvt_i32_f32_e32 v172, v172                               // 00000002D6C0: 7F5811AC
	v_cvt_i32_f32_e32 v173, v173                               // 00000002D6C4: 7F5A11AD
	v_cvt_i32_f32_e32 v174, v174                               // 00000002D6C8: 7F5C11AE
	v_cvt_i32_f32_e32 v175, v175                               // 00000002D6CC: 7F5E11AF
	v_perm_b32 v160, v161, v160, s53                           // 00000002D6D0: D1ED00A0 00D741A1
	v_perm_b32 v160, v162, v160, s54                           // 00000002D6D8: D1ED00A0 00DB41A2
	v_perm_b32 v160, v163, v160, s55                           // 00000002D6E0: D1ED00A0 00DF41A3
	v_perm_b32 v161, v165, v164, s53                           // 00000002D6E8: D1ED00A1 00D749A5
	v_perm_b32 v161, v166, v161, s54                           // 00000002D6F0: D1ED00A1 00DB43A6
	v_perm_b32 v161, v167, v161, s55                           // 00000002D6F8: D1ED00A1 00DF43A7
	v_perm_b32 v162, v169, v168, s53                           // 00000002D700: D1ED00A2 00D751A9
	v_perm_b32 v162, v170, v162, s54                           // 00000002D708: D1ED00A2 00DB45AA
	v_perm_b32 v162, v171, v162, s55                           // 00000002D710: D1ED00A2 00DF45AB
	v_perm_b32 v163, v173, v172, s53                           // 00000002D718: D1ED00A3 00D759AD
	v_perm_b32 v163, v174, v163, s54                           // 00000002D720: D1ED00A3 00DB47AE
	v_perm_b32 v163, v175, v163, s55                           // 00000002D728: D1ED00A3 00DF47AF
	ds_write_b32 v10, v160 offset:37376                        // 00000002D730: D81A9200 0000A00A
	ds_write_b32 v10, v161 offset:38400                        // 00000002D738: D81A9600 0000A10A
	ds_write_b32 v10, v162 offset:39424                        // 00000002D740: D81A9A00 0000A20A
	ds_write_b32 v10, v163 offset:40448                        // 00000002D748: D81A9E00 0000A30A
	v_add_f32_e32 v232, v232, v200                             // 00000002D750: 03D191E8
	v_add_f32_e32 v233, v233, v201                             // 00000002D754: 03D393E9
	v_add_f32_e32 v234, v234, v202                             // 00000002D758: 03D595EA
	v_add_f32_e32 v235, v235, v203                             // 00000002D75C: 03D797EB
	v_add_f32_e32 v236, v236, v204                             // 00000002D760: 03D999EC
	v_add_f32_e32 v237, v237, v205                             // 00000002D764: 03DB9BED
	v_add_f32_e32 v238, v238, v206                             // 00000002D768: 03DD9DEE
	v_add_f32_e32 v239, v239, v207                             // 00000002D76C: 03DF9FEF
	v_rcp_f32_e32 v47, v48                                     // 00000002D770: 7E5E4530
	s_waitcnt lgkmcnt(0)                                       // 00000002D774: BF8CC07F
	s_barrier                                                  // 00000002D778: BF8A0000
	ds_read_b64 v[160:161], v9 offset:37376                    // 00000002D77C: D8EC9200 A0000009
	ds_read_b64 v[162:163], v9 offset:37504                    // 00000002D784: D8EC9280 A2000009
	ds_read_b64 v[164:165], v9 offset:38400                    // 00000002D78C: D8EC9600 A4000009
	ds_read_b64 v[166:167], v9 offset:38528                    // 00000002D794: D8EC9680 A6000009
	ds_read_b64 v[168:169], v9 offset:39424                    // 00000002D79C: D8EC9A00 A8000009
	ds_read_b64 v[170:171], v9 offset:39552                    // 00000002D7A4: D8EC9A80 AA000009
	ds_read_b64 v[172:173], v9 offset:40448                    // 00000002D7AC: D8EC9E00 AC000009
	ds_read_b64 v[174:175], v9 offset:40576                    // 00000002D7B4: D8EC9E80 AE000009
	s_waitcnt vmcnt(0)                                         // 00000002D7BC: BF8C0F70
	s_barrier                                                  // 00000002D7C0: BF8A0000
	v_mfma_i32_16x16x32_i8 v[176:179], a[64:65], v[112:113], 0 // 00000002D7C4: D3D700B0 0A02E140
	v_mfma_i32_16x16x32_i8 v[176:179], a[66:67], v[114:115], v[176:179]// 00000002D7CC: D3D700B0 0EC2E542
	v_mfma_i32_16x16x32_i8 v[176:179], a[68:69], v[116:117], v[176:179]// 00000002D7D4: D3D700B0 0EC2E944
	v_mfma_i32_16x16x32_i8 v[176:179], a[70:71], v[118:119], v[176:179]// 00000002D7DC: D3D700B0 0EC2ED46
	v_mfma_i32_16x16x32_i8 v[176:179], a[72:73], v[120:121], v[176:179]// 00000002D7E4: D3D700B0 0EC2F148
	v_mfma_i32_16x16x32_i8 v[176:179], a[74:75], v[122:123], v[176:179]// 00000002D7EC: D3D700B0 0EC2F54A
	v_mfma_i32_16x16x32_i8 v[176:179], a[76:77], v[124:125], v[176:179]// 00000002D7F4: D3D700B0 0EC2F94C
	v_mfma_i32_16x16x32_i8 v[176:179], a[78:79], v[126:127], v[176:179]// 00000002D7FC: D3D700B0 0EC2FD4E
	v_mfma_i32_16x16x32_i8 v[180:183], a[80:81], v[112:113], 0 // 00000002D804: D3D700B4 0A02E150
	v_mfma_i32_16x16x32_i8 v[180:183], a[82:83], v[114:115], v[180:183]// 00000002D80C: D3D700B4 0ED2E552
	v_mfma_i32_16x16x32_i8 v[180:183], a[84:85], v[116:117], v[180:183]// 00000002D814: D3D700B4 0ED2E954
	v_mfma_i32_16x16x32_i8 v[180:183], a[86:87], v[118:119], v[180:183]// 00000002D81C: D3D700B4 0ED2ED56
	v_mfma_i32_16x16x32_i8 v[180:183], a[88:89], v[120:121], v[180:183]// 00000002D824: D3D700B4 0ED2F158
	v_mfma_i32_16x16x32_i8 v[180:183], a[90:91], v[122:123], v[180:183]// 00000002D82C: D3D700B4 0ED2F55A
	v_mfma_i32_16x16x32_i8 v[180:183], a[92:93], v[124:125], v[180:183]// 00000002D834: D3D700B4 0ED2F95C
	v_mfma_i32_16x16x32_i8 v[180:183], a[94:95], v[126:127], v[180:183]// 00000002D83C: D3D700B4 0ED2FD5E
	v_mfma_i32_16x16x32_i8 v[184:187], a[64:65], v[128:129], 0 // 00000002D844: D3D700B8 0A030140
	v_mfma_i32_16x16x32_i8 v[184:187], a[66:67], v[130:131], v[184:187]// 00000002D84C: D3D700B8 0EE30542
	v_mfma_i32_16x16x32_i8 v[184:187], a[68:69], v[132:133], v[184:187]// 00000002D854: D3D700B8 0EE30944
	v_mfma_i32_16x16x32_i8 v[184:187], a[70:71], v[134:135], v[184:187]// 00000002D85C: D3D700B8 0EE30D46
	v_mfma_i32_16x16x32_i8 v[184:187], a[72:73], v[136:137], v[184:187]// 00000002D864: D3D700B8 0EE31148
	v_mfma_i32_16x16x32_i8 v[184:187], a[74:75], v[138:139], v[184:187]// 00000002D86C: D3D700B8 0EE3154A
	v_mfma_i32_16x16x32_i8 v[184:187], a[76:77], v[140:141], v[184:187]// 00000002D874: D3D700B8 0EE3194C
	v_mfma_i32_16x16x32_i8 v[184:187], a[78:79], v[142:143], v[184:187]// 00000002D87C: D3D700B8 0EE31D4E
	v_mfma_i32_16x16x32_i8 v[188:191], a[80:81], v[128:129], 0 // 00000002D884: D3D700BC 0A030150
	v_mfma_i32_16x16x32_i8 v[188:191], a[82:83], v[130:131], v[188:191]// 00000002D88C: D3D700BC 0EF30552
	v_mfma_i32_16x16x32_i8 v[188:191], a[84:85], v[132:133], v[188:191]// 00000002D894: D3D700BC 0EF30954
	v_mfma_i32_16x16x32_i8 v[188:191], a[86:87], v[134:135], v[188:191]// 00000002D89C: D3D700BC 0EF30D56
	v_mfma_i32_16x16x32_i8 v[188:191], a[88:89], v[136:137], v[188:191]// 00000002D8A4: D3D700BC 0EF31158
	v_mfma_i32_16x16x32_i8 v[188:191], a[90:91], v[138:139], v[188:191]// 00000002D8AC: D3D700BC 0EF3155A
	v_mfma_i32_16x16x32_i8 v[188:191], a[92:93], v[140:141], v[188:191]// 00000002D8B4: D3D700BC 0EF3195C
	v_mfma_i32_16x16x32_i8 v[188:191], a[94:95], v[142:143], v[188:191]// 00000002D8BC: D3D700BC 0EF31D5E
	v_mfma_i32_16x16x32_i8 v[192:195], a[64:65], v[144:145], 0 // 00000002D8C4: D3D700C0 0A032140
	v_mfma_i32_16x16x32_i8 v[192:195], a[66:67], v[146:147], v[192:195]// 00000002D8CC: D3D700C0 0F032542
	v_mfma_i32_16x16x32_i8 v[192:195], a[68:69], v[148:149], v[192:195]// 00000002D8D4: D3D700C0 0F032944
	v_mfma_i32_16x16x32_i8 v[192:195], a[70:71], v[150:151], v[192:195]// 00000002D8DC: D3D700C0 0F032D46
	v_mfma_i32_16x16x32_i8 v[192:195], a[72:73], v[152:153], v[192:195]// 00000002D8E4: D3D700C0 0F033148
	v_mfma_i32_16x16x32_i8 v[192:195], a[74:75], v[154:155], v[192:195]// 00000002D8EC: D3D700C0 0F03354A
	v_mfma_i32_16x16x32_i8 v[192:195], a[76:77], v[156:157], v[192:195]// 00000002D8F4: D3D700C0 0F03394C
	v_mfma_i32_16x16x32_i8 v[192:195], a[78:79], v[158:159], v[192:195]// 00000002D8FC: D3D700C0 0F033D4E
	v_mfma_i32_16x16x32_i8 v[196:199], a[80:81], v[144:145], 0 // 00000002D904: D3D700C4 0A032150
	v_mfma_i32_16x16x32_i8 v[196:199], a[82:83], v[146:147], v[196:199]// 00000002D90C: D3D700C4 0F132552
	v_mfma_i32_16x16x32_i8 v[196:199], a[84:85], v[148:149], v[196:199]// 00000002D914: D3D700C4 0F132954
	v_mfma_i32_16x16x32_i8 v[196:199], a[86:87], v[150:151], v[196:199]// 00000002D91C: D3D700C4 0F132D56
	v_mfma_i32_16x16x32_i8 v[196:199], a[88:89], v[152:153], v[196:199]// 00000002D924: D3D700C4 0F133158
	v_mfma_i32_16x16x32_i8 v[196:199], a[90:91], v[154:155], v[196:199]// 00000002D92C: D3D700C4 0F13355A
	v_mfma_i32_16x16x32_i8 v[196:199], a[92:93], v[156:157], v[196:199]// 00000002D934: D3D700C4 0F13395C
	v_mfma_i32_16x16x32_i8 v[196:199], a[94:95], v[158:159], v[196:199]// 00000002D93C: D3D700C4 0F133D5E
	v_mfma_i32_16x16x32_i8 v[200:203], a[64:65], v[160:161], 0 // 00000002D944: D3D700C8 0A034140
	v_mfma_i32_16x16x32_i8 v[200:203], a[66:67], v[162:163], v[200:203]// 00000002D94C: D3D700C8 0F234542
	v_mfma_i32_16x16x32_i8 v[200:203], a[68:69], v[164:165], v[200:203]// 00000002D954: D3D700C8 0F234944
	v_mfma_i32_16x16x32_i8 v[200:203], a[70:71], v[166:167], v[200:203]// 00000002D95C: D3D700C8 0F234D46
	v_mfma_i32_16x16x32_i8 v[200:203], a[72:73], v[168:169], v[200:203]// 00000002D964: D3D700C8 0F235148
	v_mfma_i32_16x16x32_i8 v[200:203], a[74:75], v[170:171], v[200:203]// 00000002D96C: D3D700C8 0F23554A
	v_mfma_i32_16x16x32_i8 v[200:203], a[76:77], v[172:173], v[200:203]// 00000002D974: D3D700C8 0F23594C
	v_mfma_i32_16x16x32_i8 v[200:203], a[78:79], v[174:175], v[200:203]// 00000002D97C: D3D700C8 0F235D4E
	v_mfma_i32_16x16x32_i8 v[204:207], a[80:81], v[160:161], 0 // 00000002D984: D3D700CC 0A034150
	v_mfma_i32_16x16x32_i8 v[204:207], a[82:83], v[162:163], v[204:207]// 00000002D98C: D3D700CC 0F334552
	v_mfma_i32_16x16x32_i8 v[204:207], a[84:85], v[164:165], v[204:207]// 00000002D994: D3D700CC 0F334954
	v_mfma_i32_16x16x32_i8 v[204:207], a[86:87], v[166:167], v[204:207]// 00000002D99C: D3D700CC 0F334D56
	v_mfma_i32_16x16x32_i8 v[204:207], a[88:89], v[168:169], v[204:207]// 00000002D9A4: D3D700CC 0F335158
	v_mfma_i32_16x16x32_i8 v[204:207], a[90:91], v[170:171], v[204:207]// 00000002D9AC: D3D700CC 0F33555A
	v_mfma_i32_16x16x32_i8 v[204:207], a[92:93], v[172:173], v[204:207]// 00000002D9B4: D3D700CC 0F33595C
	v_mfma_i32_16x16x32_i8 v[204:207], a[94:95], v[174:175], v[204:207]// 00000002D9BC: D3D700CC 0F335D5E
	s_nop 4                                                    // 00000002D9C4: BF800004
	s_branch label_BA22                                        // 00000002D9C8: BF820C2F

000000000002d9cc <label_ADF3>:
	s_waitcnt vmcnt(8) lgkmcnt(0)                              // 00000002D9CC: BF8C0078
	s_barrier                                                  // 00000002D9D0: BF8A0000
	v_mfma_i32_16x16x32_i8 v[112:115], a[32:33], v[80:81], 0   // 00000002D9D4: D3D70070 0A02A120
	v_mfma_i32_16x16x32_i8 v[112:115], a[34:35], v[82:83], v[112:115]// 00000002D9DC: D3D70070 0DC2A522
	v_mfma_i32_16x16x32_i8 v[112:115], a[36:37], v[84:85], v[112:115]// 00000002D9E4: D3D70070 0DC2A924
	v_mfma_i32_16x16x32_i8 v[112:115], a[38:39], v[86:87], v[112:115]// 00000002D9EC: D3D70070 0DC2AD26
	v_mfma_i32_16x16x32_i8 v[116:119], a[40:41], v[80:81], 0   // 00000002D9F4: D3D70074 0A02A128
	v_mfma_i32_16x16x32_i8 v[116:119], a[42:43], v[82:83], v[116:119]// 00000002D9FC: D3D70074 0DD2A52A
	v_mfma_i32_16x16x32_i8 v[116:119], a[44:45], v[84:85], v[116:119]// 00000002DA04: D3D70074 0DD2A92C
	v_mfma_i32_16x16x32_i8 v[116:119], a[46:47], v[86:87], v[116:119]// 00000002DA0C: D3D70074 0DD2AD2E
	v_mfma_i32_16x16x32_i8 v[120:123], a[48:49], v[80:81], 0   // 00000002DA14: D3D70078 0A02A130
	v_mfma_i32_16x16x32_i8 v[120:123], a[50:51], v[82:83], v[120:123]// 00000002DA1C: D3D70078 0DE2A532
	v_mfma_i32_16x16x32_i8 v[120:123], a[52:53], v[84:85], v[120:123]// 00000002DA24: D3D70078 0DE2A934
	v_mfma_i32_16x16x32_i8 v[120:123], a[54:55], v[86:87], v[120:123]// 00000002DA2C: D3D70078 0DE2AD36
	v_mfma_i32_16x16x32_i8 v[124:127], a[56:57], v[80:81], 0   // 00000002DA34: D3D7007C 0A02A138
	v_mfma_i32_16x16x32_i8 v[124:127], a[58:59], v[82:83], v[124:127]// 00000002DA3C: D3D7007C 0DF2A53A
	v_mfma_i32_16x16x32_i8 v[124:127], a[60:61], v[84:85], v[124:127]// 00000002DA44: D3D7007C 0DF2A93C
	v_mfma_i32_16x16x32_i8 v[124:127], a[62:63], v[86:87], v[124:127]// 00000002DA4C: D3D7007C 0DF2AD3E
	v_mfma_i32_16x16x32_i8 v[128:131], a[32:33], v[88:89], 0   // 00000002DA54: D3D70080 0A02B120
	v_mfma_i32_16x16x32_i8 v[128:131], a[34:35], v[90:91], v[128:131]// 00000002DA5C: D3D70080 0E02B522
	v_mfma_i32_16x16x32_i8 v[128:131], a[36:37], v[92:93], v[128:131]// 00000002DA64: D3D70080 0E02B924
	v_mfma_i32_16x16x32_i8 v[128:131], a[38:39], v[94:95], v[128:131]// 00000002DA6C: D3D70080 0E02BD26
	v_mfma_i32_16x16x32_i8 v[132:135], a[40:41], v[88:89], 0   // 00000002DA74: D3D70084 0A02B128
	v_mfma_i32_16x16x32_i8 v[132:135], a[42:43], v[90:91], v[132:135]// 00000002DA7C: D3D70084 0E12B52A
	v_mfma_i32_16x16x32_i8 v[132:135], a[44:45], v[92:93], v[132:135]// 00000002DA84: D3D70084 0E12B92C
	v_mfma_i32_16x16x32_i8 v[132:135], a[46:47], v[94:95], v[132:135]// 00000002DA8C: D3D70084 0E12BD2E
	v_mfma_i32_16x16x32_i8 v[136:139], a[48:49], v[88:89], 0   // 00000002DA94: D3D70088 0A02B130
	v_mfma_i32_16x16x32_i8 v[136:139], a[50:51], v[90:91], v[136:139]// 00000002DA9C: D3D70088 0E22B532
	v_mfma_i32_16x16x32_i8 v[136:139], a[52:53], v[92:93], v[136:139]// 00000002DAA4: D3D70088 0E22B934
	v_mfma_i32_16x16x32_i8 v[136:139], a[54:55], v[94:95], v[136:139]// 00000002DAAC: D3D70088 0E22BD36
	v_mfma_i32_16x16x32_i8 v[140:143], a[56:57], v[88:89], 0   // 00000002DAB4: D3D7008C 0A02B138
	v_mfma_i32_16x16x32_i8 v[140:143], a[58:59], v[90:91], v[140:143]// 00000002DABC: D3D7008C 0E32B53A
	v_mfma_i32_16x16x32_i8 v[140:143], a[60:61], v[92:93], v[140:143]// 00000002DAC4: D3D7008C 0E32B93C
	v_mfma_i32_16x16x32_i8 v[140:143], a[62:63], v[94:95], v[140:143]// 00000002DACC: D3D7008C 0E32BD3E
	v_mfma_i32_16x16x32_i8 v[144:147], a[32:33], v[96:97], 0   // 00000002DAD4: D3D70090 0A02C120
	v_mfma_i32_16x16x32_i8 v[144:147], a[34:35], v[98:99], v[144:147]// 00000002DADC: D3D70090 0E42C522
	v_mfma_i32_16x16x32_i8 v[144:147], a[36:37], v[100:101], v[144:147]// 00000002DAE4: D3D70090 0E42C924
	v_mfma_i32_16x16x32_i8 v[144:147], a[38:39], v[102:103], v[144:147]// 00000002DAEC: D3D70090 0E42CD26
	v_mfma_i32_16x16x32_i8 v[148:151], a[40:41], v[96:97], 0   // 00000002DAF4: D3D70094 0A02C128
	v_mfma_i32_16x16x32_i8 v[148:151], a[42:43], v[98:99], v[148:151]// 00000002DAFC: D3D70094 0E52C52A
	v_mfma_i32_16x16x32_i8 v[148:151], a[44:45], v[100:101], v[148:151]// 00000002DB04: D3D70094 0E52C92C
	v_mfma_i32_16x16x32_i8 v[148:151], a[46:47], v[102:103], v[148:151]// 00000002DB0C: D3D70094 0E52CD2E
	v_mfma_i32_16x16x32_i8 v[152:155], a[48:49], v[96:97], 0   // 00000002DB14: D3D70098 0A02C130
	v_mfma_i32_16x16x32_i8 v[152:155], a[50:51], v[98:99], v[152:155]// 00000002DB1C: D3D70098 0E62C532
	v_mfma_i32_16x16x32_i8 v[152:155], a[52:53], v[100:101], v[152:155]// 00000002DB24: D3D70098 0E62C934
	v_mfma_i32_16x16x32_i8 v[152:155], a[54:55], v[102:103], v[152:155]// 00000002DB2C: D3D70098 0E62CD36
	v_mfma_i32_16x16x32_i8 v[156:159], a[56:57], v[96:97], 0   // 00000002DB34: D3D7009C 0A02C138
	v_mfma_i32_16x16x32_i8 v[156:159], a[58:59], v[98:99], v[156:159]// 00000002DB3C: D3D7009C 0E72C53A
	v_mfma_i32_16x16x32_i8 v[156:159], a[60:61], v[100:101], v[156:159]// 00000002DB44: D3D7009C 0E72C93C
	v_mfma_i32_16x16x32_i8 v[156:159], a[62:63], v[102:103], v[156:159]// 00000002DB4C: D3D7009C 0E72CD3E
	v_mfma_i32_16x16x32_i8 v[160:163], a[32:33], v[104:105], 0 // 00000002DB54: D3D700A0 0A02D120
	v_mfma_i32_16x16x32_i8 v[160:163], a[34:35], v[106:107], v[160:163]// 00000002DB5C: D3D700A0 0E82D522
	v_mfma_i32_16x16x32_i8 v[160:163], a[36:37], v[108:109], v[160:163]// 00000002DB64: D3D700A0 0E82D924
	v_mfma_i32_16x16x32_i8 v[160:163], a[38:39], v[110:111], v[160:163]// 00000002DB6C: D3D700A0 0E82DD26
	v_mfma_i32_16x16x32_i8 v[164:167], a[40:41], v[104:105], 0 // 00000002DB74: D3D700A4 0A02D128
	v_mfma_i32_16x16x32_i8 v[164:167], a[42:43], v[106:107], v[164:167]// 00000002DB7C: D3D700A4 0E92D52A
	v_mfma_i32_16x16x32_i8 v[164:167], a[44:45], v[108:109], v[164:167]// 00000002DB84: D3D700A4 0E92D92C
	v_mfma_i32_16x16x32_i8 v[164:167], a[46:47], v[110:111], v[164:167]// 00000002DB8C: D3D700A4 0E92DD2E
	v_mfma_i32_16x16x32_i8 v[168:171], a[48:49], v[104:105], 0 // 00000002DB94: D3D700A8 0A02D130
	v_mfma_i32_16x16x32_i8 v[168:171], a[50:51], v[106:107], v[168:171]// 00000002DB9C: D3D700A8 0EA2D532
	v_mfma_i32_16x16x32_i8 v[168:171], a[52:53], v[108:109], v[168:171]// 00000002DBA4: D3D700A8 0EA2D934
	v_mfma_i32_16x16x32_i8 v[168:171], a[54:55], v[110:111], v[168:171]// 00000002DBAC: D3D700A8 0EA2DD36
	v_mfma_i32_16x16x32_i8 v[172:175], a[56:57], v[104:105], 0 // 00000002DBB4: D3D700AC 0A02D138
	v_mfma_i32_16x16x32_i8 v[172:175], a[58:59], v[106:107], v[172:175]// 00000002DBBC: D3D700AC 0EB2D53A
	v_mfma_i32_16x16x32_i8 v[172:175], a[60:61], v[108:109], v[172:175]// 00000002DBC4: D3D700AC 0EB2D93C
	v_mfma_i32_16x16x32_i8 v[172:175], a[62:63], v[110:111], v[172:175]// 00000002DBCC: D3D700AC 0EB2DD3E
	v_mov_b32_dpp v64, v43 row_shr:4 row_mask:0xf bank_mask:0xf// 00000002DBD4: 7E8002FA FF01142B
	v_mov_b32_dpp v65, v43 row_shl:4 row_mask:0xf bank_mask:0xf// 00000002DBDC: 7E8202FA FF01042B
	v_cndmask_b32_e64 v248, v43, v64, s[44:45]                 // 00000002DBE4: D10000F8 00B2812B
	v_cndmask_b32_e64 v249, v65, v43, s[44:45]                 // 00000002DBEC: D10000F9 00B25741
	v_mov_b32_dpp v64, v248 row_shr:8 row_mask:0xf bank_mask:0xf// 00000002DBF4: 7E8002FA FF0118F8
	v_mov_b32_dpp v65, v248 row_shl:8 row_mask:0xf bank_mask:0xf// 00000002DBFC: 7E8202FA FF0108F8
	v_mov_b32_dpp v66, v249 row_shr:8 row_mask:0xf bank_mask:0xf// 00000002DC04: 7E8402FA FF0118F9
	v_mov_b32_dpp v67, v249 row_shl:8 row_mask:0xf bank_mask:0xf// 00000002DC0C: 7E8602FA FF0108F9
	v_mov_b32_e32 v68, v248                                    // 00000002DC14: 7E8803F8
	v_mov_b32_e32 v69, v249                                    // 00000002DC18: 7E8A03F9
	v_cndmask_b32_e64 v248, v68, v64, s[42:43]                 // 00000002DC1C: D10000F8 00AA8144
	v_cndmask_b32_e64 v250, v68, v65, s[78:79]                 // 00000002DC24: D10000FA 013A8344
	v_cndmask_b32_e64 v249, v69, v66, s[42:43]                 // 00000002DC2C: D10000F9 00AA8545
	v_cndmask_b32_e64 v251, v69, v67, s[78:79]                 // 00000002DC34: D10000FB 013A8745
	v_mov_b32_dpp v64, v58 row_shr:4 row_mask:0xf bank_mask:0xf// 00000002DC3C: 7E8002FA FF01143A
	v_mov_b32_dpp v65, v58 row_shl:4 row_mask:0xf bank_mask:0xf// 00000002DC44: 7E8202FA FF01043A
	v_cndmask_b32_e64 v252, v58, v64, s[44:45]                 // 00000002DC4C: D10000FC 00B2813A
	v_cndmask_b32_e64 v253, v65, v58, s[44:45]                 // 00000002DC54: D10000FD 00B27541
	v_mov_b32_dpp v64, v252 row_shr:8 row_mask:0xf bank_mask:0xf// 00000002DC5C: 7E8002FA FF0118FC
	v_mov_b32_dpp v65, v252 row_shl:8 row_mask:0xf bank_mask:0xf// 00000002DC64: 7E8202FA FF0108FC
	v_mov_b32_dpp v66, v253 row_shr:8 row_mask:0xf bank_mask:0xf// 00000002DC6C: 7E8402FA FF0118FD
	v_mov_b32_dpp v67, v253 row_shl:8 row_mask:0xf bank_mask:0xf// 00000002DC74: 7E8602FA FF0108FD
	v_mov_b32_e32 v68, v252                                    // 00000002DC7C: 7E8803FC
	v_mov_b32_e32 v69, v253                                    // 00000002DC80: 7E8A03FD
	v_cndmask_b32_e64 v252, v68, v64, s[42:43]                 // 00000002DC84: D10000FC 00AA8144
	v_cndmask_b32_e64 v254, v68, v65, s[78:79]                 // 00000002DC8C: D10000FE 013A8344
	v_cndmask_b32_e64 v253, v69, v66, s[42:43]                 // 00000002DC94: D10000FD 00AA8545
	v_cndmask_b32_e64 v255, v69, v67, s[78:79]                 // 00000002DC9C: D10000FF 013A8745
	v_cvt_f32_i32_e32 v112, v112                               // 00000002DCA4: 7EE00B70
	v_cvt_f32_i32_e32 v113, v113                               // 00000002DCA8: 7EE20B71
	v_cvt_f32_i32_e32 v114, v114                               // 00000002DCAC: 7EE40B72
	v_cvt_f32_i32_e32 v115, v115                               // 00000002DCB0: 7EE60B73
	v_cvt_f32_i32_e32 v116, v116                               // 00000002DCB4: 7EE80B74
	v_cvt_f32_i32_e32 v117, v117                               // 00000002DCB8: 7EEA0B75
	v_cvt_f32_i32_e32 v118, v118                               // 00000002DCBC: 7EEC0B76
	v_cvt_f32_i32_e32 v119, v119                               // 00000002DCC0: 7EEE0B77
	v_cvt_f32_i32_e32 v120, v120                               // 00000002DCC4: 7EF00B78
	v_cvt_f32_i32_e32 v121, v121                               // 00000002DCC8: 7EF20B79
	v_cvt_f32_i32_e32 v122, v122                               // 00000002DCCC: 7EF40B7A
	v_cvt_f32_i32_e32 v123, v123                               // 00000002DCD0: 7EF60B7B
	v_cvt_f32_i32_e32 v124, v124                               // 00000002DCD4: 7EF80B7C
	v_cvt_f32_i32_e32 v125, v125                               // 00000002DCD8: 7EFA0B7D
	v_cvt_f32_i32_e32 v126, v126                               // 00000002DCDC: 7EFC0B7E
	v_cvt_f32_i32_e32 v127, v127                               // 00000002DCE0: 7EFE0B7F
	v_mul_f32_e32 v112, v18, v112                              // 00000002DCE4: 0AE0E112
	v_mul_f32_e32 v113, v18, v113                              // 00000002DCE8: 0AE2E312
	v_mul_f32_e32 v114, v18, v114                              // 00000002DCEC: 0AE4E512
	v_mul_f32_e32 v115, v18, v115                              // 00000002DCF0: 0AE6E712
	v_mul_f32_e32 v116, v18, v116                              // 00000002DCF4: 0AE8E912
	v_mul_f32_e32 v117, v18, v117                              // 00000002DCF8: 0AEAEB12
	v_mul_f32_e32 v118, v18, v118                              // 00000002DCFC: 0AECED12
	v_mul_f32_e32 v119, v18, v119                              // 00000002DD00: 0AEEEF12
	v_mul_f32_e32 v120, v18, v120                              // 00000002DD04: 0AF0F112
	v_mul_f32_e32 v121, v18, v121                              // 00000002DD08: 0AF2F312
	v_mul_f32_e32 v122, v18, v122                              // 00000002DD0C: 0AF4F512
	v_mul_f32_e32 v123, v18, v123                              // 00000002DD10: 0AF6F712
	v_mul_f32_e32 v124, v18, v124                              // 00000002DD14: 0AF8F912
	v_mul_f32_e32 v125, v18, v125                              // 00000002DD18: 0AFAFB12
	v_mul_f32_e32 v126, v18, v126                              // 00000002DD1C: 0AFCFD12
	v_mul_f32_e32 v127, v18, v127                              // 00000002DD20: 0AFEFF12
	v_mul_f32_dpp v112, v248, v112 quad_perm:[0,0,0,0] row_mask:0xf bank_mask:0xf// 00000002DD24: 0AE0E0FA FF0000F8
	v_mul_f32_dpp v113, v248, v113 quad_perm:[1,1,1,1] row_mask:0xf bank_mask:0xf// 00000002DD2C: 0AE2E2FA FF0055F8
	v_mul_f32_dpp v114, v248, v114 quad_perm:[2,2,2,2] row_mask:0xf bank_mask:0xf// 00000002DD34: 0AE4E4FA FF00AAF8
	v_mul_f32_dpp v115, v248, v115 quad_perm:[3,3,3,3] row_mask:0xf bank_mask:0xf// 00000002DD3C: 0AE6E6FA FF00FFF8
	v_mul_f32_dpp v116, v249, v116 quad_perm:[0,0,0,0] row_mask:0xf bank_mask:0xf// 00000002DD44: 0AE8E8FA FF0000F9
	v_mul_f32_dpp v117, v249, v117 quad_perm:[1,1,1,1] row_mask:0xf bank_mask:0xf// 00000002DD4C: 0AEAEAFA FF0055F9
	v_mul_f32_dpp v118, v249, v118 quad_perm:[2,2,2,2] row_mask:0xf bank_mask:0xf// 00000002DD54: 0AECECFA FF00AAF9
	v_mul_f32_dpp v119, v249, v119 quad_perm:[3,3,3,3] row_mask:0xf bank_mask:0xf// 00000002DD5C: 0AEEEEFA FF00FFF9
	v_mul_f32_dpp v120, v250, v120 quad_perm:[0,0,0,0] row_mask:0xf bank_mask:0xf// 00000002DD64: 0AF0F0FA FF0000FA
	v_mul_f32_dpp v121, v250, v121 quad_perm:[1,1,1,1] row_mask:0xf bank_mask:0xf// 00000002DD6C: 0AF2F2FA FF0055FA
	v_mul_f32_dpp v122, v250, v122 quad_perm:[2,2,2,2] row_mask:0xf bank_mask:0xf// 00000002DD74: 0AF4F4FA FF00AAFA
	v_mul_f32_dpp v123, v250, v123 quad_perm:[3,3,3,3] row_mask:0xf bank_mask:0xf// 00000002DD7C: 0AF6F6FA FF00FFFA
	v_mul_f32_dpp v124, v251, v124 quad_perm:[0,0,0,0] row_mask:0xf bank_mask:0xf// 00000002DD84: 0AF8F8FA FF0000FB
	v_mul_f32_dpp v125, v251, v125 quad_perm:[1,1,1,1] row_mask:0xf bank_mask:0xf// 00000002DD8C: 0AFAFAFA FF0055FB
	v_mul_f32_dpp v126, v251, v126 quad_perm:[2,2,2,2] row_mask:0xf bank_mask:0xf// 00000002DD94: 0AFCFCFA FF00AAFB
	v_mul_f32_dpp v127, v251, v127 quad_perm:[3,3,3,3] row_mask:0xf bank_mask:0xf// 00000002DD9C: 0AFEFEFA FF00FFFB
	s_cmp_le_i32 s90, s89                                      // 00000002DDA4: BF05595A
	s_cbranch_scc1 label_AF5C                                  // 00000002DDA8: BF850071
	v_mov_b32_e32 v66, 0xff800000                              // 00000002DDAC: 7E8402FF FF800000
	s_mov_b32 s60, s90                                         // 00000002DDB4: BEBC005A
	s_add_u32 s61, s89, 0xff                                   // 00000002DDB8: 803DFF59 000000FF
	v_mov_b32_e32 v64, s61                                     // 00000002DDC0: 7E80023D
	v_lshrrev_b32_e32 v240, 4, v0                              // 00000002DDC4: 21E00084
	v_mul_i32_i24_e32 v240, 4, v240                            // 00000002DDC8: 0DE1E084
	v_add_u32_e32 v240, s60, v240                              // 00000002DDCC: 69E1E03C
	s_mov_b32 s61, 0                                           // 00000002DDD0: BEBD0080
	s_mul_i32 s60, 16, s7                                      // 00000002DDD4: 923C0790
	v_sub_u32_e64 v240, v240, s61                              // 00000002DDD8: D13500F0 00007BF0
	v_add_u32_e32 v240, s60, v240                              // 00000002DDE0: 69E1E03C
	v_add_u32_e32 v241, 1, v240                                // 00000002DDE4: 69E3E081
	v_add_u32_e32 v242, 2, v240                                // 00000002DDE8: 69E5E082
	v_add_u32_e32 v243, 3, v240                                // 00000002DDEC: 69E7E083
	v_cmp_le_u32_e64 s[40:41], v240, v64                       // 00000002DDF0: D0CB0028 000281F0
	v_add_u32_e32 v240, 64, v240                               // 00000002DDF8: 69E1E0C0
	s_nop 0                                                    // 00000002DDFC: BF800000
	v_cndmask_b32_e64 v112, v66, v112, s[40:41]                // 00000002DE00: D1000070 00A2E142
	v_cmp_le_u32_e64 s[40:41], v241, v64                       // 00000002DE08: D0CB0028 000281F1
	v_add_u32_e32 v241, 64, v241                               // 00000002DE10: 69E3E2C0
	s_nop 0                                                    // 00000002DE14: BF800000
	v_cndmask_b32_e64 v113, v66, v113, s[40:41]                // 00000002DE18: D1000071 00A2E342
	v_cmp_le_u32_e64 s[40:41], v242, v64                       // 00000002DE20: D0CB0028 000281F2
	v_add_u32_e32 v242, 64, v242                               // 00000002DE28: 69E5E4C0
	s_nop 0                                                    // 00000002DE2C: BF800000
	v_cndmask_b32_e64 v114, v66, v114, s[40:41]                // 00000002DE30: D1000072 00A2E542
	v_cmp_le_u32_e64 s[40:41], v243, v64                       // 00000002DE38: D0CB0028 000281F3
	v_add_u32_e32 v243, 64, v243                               // 00000002DE40: 69E7E6C0
	s_nop 0                                                    // 00000002DE44: BF800000
	v_cndmask_b32_e64 v115, v66, v115, s[40:41]                // 00000002DE48: D1000073 00A2E742
	v_cmp_le_u32_e64 s[40:41], v240, v64                       // 00000002DE50: D0CB0028 000281F0
	v_add_u32_e32 v240, 64, v240                               // 00000002DE58: 69E1E0C0
	s_nop 0                                                    // 00000002DE5C: BF800000
	v_cndmask_b32_e64 v116, v66, v116, s[40:41]                // 00000002DE60: D1000074 00A2E942
	v_cmp_le_u32_e64 s[40:41], v241, v64                       // 00000002DE68: D0CB0028 000281F1
	v_add_u32_e32 v241, 64, v241                               // 00000002DE70: 69E3E2C0
	s_nop 0                                                    // 00000002DE74: BF800000
	v_cndmask_b32_e64 v117, v66, v117, s[40:41]                // 00000002DE78: D1000075 00A2EB42
	v_cmp_le_u32_e64 s[40:41], v242, v64                       // 00000002DE80: D0CB0028 000281F2
	v_add_u32_e32 v242, 64, v242                               // 00000002DE88: 69E5E4C0
	s_nop 0                                                    // 00000002DE8C: BF800000
	v_cndmask_b32_e64 v118, v66, v118, s[40:41]                // 00000002DE90: D1000076 00A2ED42
	v_cmp_le_u32_e64 s[40:41], v243, v64                       // 00000002DE98: D0CB0028 000281F3
	v_add_u32_e32 v243, 64, v243                               // 00000002DEA0: 69E7E6C0
	s_nop 0                                                    // 00000002DEA4: BF800000
	v_cndmask_b32_e64 v119, v66, v119, s[40:41]                // 00000002DEA8: D1000077 00A2EF42
	v_cmp_le_u32_e64 s[40:41], v240, v64                       // 00000002DEB0: D0CB0028 000281F0
	v_add_u32_e32 v240, 64, v240                               // 00000002DEB8: 69E1E0C0
	s_nop 0                                                    // 00000002DEBC: BF800000
	v_cndmask_b32_e64 v120, v66, v120, s[40:41]                // 00000002DEC0: D1000078 00A2F142
	v_cmp_le_u32_e64 s[40:41], v241, v64                       // 00000002DEC8: D0CB0028 000281F1
	v_add_u32_e32 v241, 64, v241                               // 00000002DED0: 69E3E2C0
	s_nop 0                                                    // 00000002DED4: BF800000
	v_cndmask_b32_e64 v121, v66, v121, s[40:41]                // 00000002DED8: D1000079 00A2F342
	v_cmp_le_u32_e64 s[40:41], v242, v64                       // 00000002DEE0: D0CB0028 000281F2
	v_add_u32_e32 v242, 64, v242                               // 00000002DEE8: 69E5E4C0
	s_nop 0                                                    // 00000002DEEC: BF800000
	v_cndmask_b32_e64 v122, v66, v122, s[40:41]                // 00000002DEF0: D100007A 00A2F542
	v_cmp_le_u32_e64 s[40:41], v243, v64                       // 00000002DEF8: D0CB0028 000281F3
	v_add_u32_e32 v243, 64, v243                               // 00000002DF00: 69E7E6C0
	s_nop 0                                                    // 00000002DF04: BF800000
	v_cndmask_b32_e64 v123, v66, v123, s[40:41]                // 00000002DF08: D100007B 00A2F742
	v_cmp_le_u32_e64 s[40:41], v240, v64                       // 00000002DF10: D0CB0028 000281F0
	v_add_u32_e32 v240, 64, v240                               // 00000002DF18: 69E1E0C0
	s_nop 0                                                    // 00000002DF1C: BF800000
	v_cndmask_b32_e64 v124, v66, v124, s[40:41]                // 00000002DF20: D100007C 00A2F942
	v_cmp_le_u32_e64 s[40:41], v241, v64                       // 00000002DF28: D0CB0028 000281F1
	v_add_u32_e32 v241, 64, v241                               // 00000002DF30: 69E3E2C0
	s_nop 0                                                    // 00000002DF34: BF800000
	v_cndmask_b32_e64 v125, v66, v125, s[40:41]                // 00000002DF38: D100007D 00A2FB42
	v_cmp_le_u32_e64 s[40:41], v242, v64                       // 00000002DF40: D0CB0028 000281F2
	v_add_u32_e32 v242, 64, v242                               // 00000002DF48: 69E5E4C0
	s_nop 0                                                    // 00000002DF4C: BF800000
	v_cndmask_b32_e64 v126, v66, v126, s[40:41]                // 00000002DF50: D100007E 00A2FD42
	v_cmp_le_u32_e64 s[40:41], v243, v64                       // 00000002DF58: D0CB0028 000281F3
	v_add_u32_e32 v243, 64, v243                               // 00000002DF60: 69E7E6C0
	s_nop 0                                                    // 00000002DF64: BF800000
	v_cndmask_b32_e64 v127, v66, v127, s[40:41]                // 00000002DF68: D100007F 00A2FF42

000000000002df70 <label_AF5C>:
	s_and_b32 s60, s72, 0xff                                   // 00000002DF70: 863CFF48 000000FF
	v_mov_b32_e32 v65, s60                                     // 00000002DF78: 7E82023C
	v_lshrrev_b32_e32 v240, 4, v0                              // 00000002DF7C: 21E00084
	v_mul_i32_i24_e32 v240, 4, v240                            // 00000002DF80: 0DE1E084
	s_mul_i32 s60, s7, 16                                      // 00000002DF84: 923C9007
	v_add_u32_e32 v240, s60, v240                              // 00000002DF88: 69E1E03C
	v_add_u32_e32 v241, 1, v240                                // 00000002DF8C: 69E3E081
	v_add_u32_e32 v242, 2, v240                                // 00000002DF90: 69E5E082
	v_add_u32_e32 v243, 3, v240                                // 00000002DF94: 69E7E083
	v_mov_b32_e32 v64, 0xff800000                              // 00000002DF98: 7E8002FF FF800000
	v_cmp_lt_u32_e64 s[40:41], v240, v65                       // 00000002DFA0: D0C90028 000283F0
	v_add_u32_e32 v240, 64, v240                               // 00000002DFA8: 69E1E0C0
	s_nop 0                                                    // 00000002DFAC: BF800000
	v_cndmask_b32_e64 v112, v64, v112, s[40:41]                // 00000002DFB0: D1000070 00A2E140
	v_cmp_lt_u32_e64 s[40:41], v241, v65                       // 00000002DFB8: D0C90028 000283F1
	v_add_u32_e32 v241, 64, v241                               // 00000002DFC0: 69E3E2C0
	s_nop 0                                                    // 00000002DFC4: BF800000
	v_cndmask_b32_e64 v113, v64, v113, s[40:41]                // 00000002DFC8: D1000071 00A2E340
	v_cmp_lt_u32_e64 s[40:41], v242, v65                       // 00000002DFD0: D0C90028 000283F2
	v_add_u32_e32 v242, 64, v242                               // 00000002DFD8: 69E5E4C0
	s_nop 0                                                    // 00000002DFDC: BF800000
	v_cndmask_b32_e64 v114, v64, v114, s[40:41]                // 00000002DFE0: D1000072 00A2E540
	v_cmp_lt_u32_e64 s[40:41], v243, v65                       // 00000002DFE8: D0C90028 000283F3
	v_add_u32_e32 v243, 64, v243                               // 00000002DFF0: 69E7E6C0
	s_nop 0                                                    // 00000002DFF4: BF800000
	v_cndmask_b32_e64 v115, v64, v115, s[40:41]                // 00000002DFF8: D1000073 00A2E740
	v_cmp_lt_u32_e64 s[40:41], v240, v65                       // 00000002E000: D0C90028 000283F0
	v_add_u32_e32 v240, 64, v240                               // 00000002E008: 69E1E0C0
	s_nop 0                                                    // 00000002E00C: BF800000
	v_cndmask_b32_e64 v116, v64, v116, s[40:41]                // 00000002E010: D1000074 00A2E940
	v_cmp_lt_u32_e64 s[40:41], v241, v65                       // 00000002E018: D0C90028 000283F1
	v_add_u32_e32 v241, 64, v241                               // 00000002E020: 69E3E2C0
	s_nop 0                                                    // 00000002E024: BF800000
	v_cndmask_b32_e64 v117, v64, v117, s[40:41]                // 00000002E028: D1000075 00A2EB40
	v_cmp_lt_u32_e64 s[40:41], v242, v65                       // 00000002E030: D0C90028 000283F2
	v_add_u32_e32 v242, 64, v242                               // 00000002E038: 69E5E4C0
	s_nop 0                                                    // 00000002E03C: BF800000
	v_cndmask_b32_e64 v118, v64, v118, s[40:41]                // 00000002E040: D1000076 00A2ED40
	v_cmp_lt_u32_e64 s[40:41], v243, v65                       // 00000002E048: D0C90028 000283F3
	v_add_u32_e32 v243, 64, v243                               // 00000002E050: 69E7E6C0
	s_nop 0                                                    // 00000002E054: BF800000
	v_cndmask_b32_e64 v119, v64, v119, s[40:41]                // 00000002E058: D1000077 00A2EF40
	v_cmp_lt_u32_e64 s[40:41], v240, v65                       // 00000002E060: D0C90028 000283F0
	v_add_u32_e32 v240, 64, v240                               // 00000002E068: 69E1E0C0
	s_nop 0                                                    // 00000002E06C: BF800000
	v_cndmask_b32_e64 v120, v64, v120, s[40:41]                // 00000002E070: D1000078 00A2F140
	v_cmp_lt_u32_e64 s[40:41], v241, v65                       // 00000002E078: D0C90028 000283F1
	v_add_u32_e32 v241, 64, v241                               // 00000002E080: 69E3E2C0
	s_nop 0                                                    // 00000002E084: BF800000
	v_cndmask_b32_e64 v121, v64, v121, s[40:41]                // 00000002E088: D1000079 00A2F340
	v_cmp_lt_u32_e64 s[40:41], v242, v65                       // 00000002E090: D0C90028 000283F2
	v_add_u32_e32 v242, 64, v242                               // 00000002E098: 69E5E4C0
	s_nop 0                                                    // 00000002E09C: BF800000
	v_cndmask_b32_e64 v122, v64, v122, s[40:41]                // 00000002E0A0: D100007A 00A2F540
	v_cmp_lt_u32_e64 s[40:41], v243, v65                       // 00000002E0A8: D0C90028 000283F3
	v_add_u32_e32 v243, 64, v243                               // 00000002E0B0: 69E7E6C0
	s_nop 0                                                    // 00000002E0B4: BF800000
	v_cndmask_b32_e64 v123, v64, v123, s[40:41]                // 00000002E0B8: D100007B 00A2F740
	v_cmp_lt_u32_e64 s[40:41], v240, v65                       // 00000002E0C0: D0C90028 000283F0
	v_add_u32_e32 v240, 64, v240                               // 00000002E0C8: 69E1E0C0
	s_nop 0                                                    // 00000002E0CC: BF800000
	v_cndmask_b32_e64 v124, v64, v124, s[40:41]                // 00000002E0D0: D100007C 00A2F940
	v_cmp_lt_u32_e64 s[40:41], v241, v65                       // 00000002E0D8: D0C90028 000283F1
	v_add_u32_e32 v241, 64, v241                               // 00000002E0E0: 69E3E2C0
	s_nop 0                                                    // 00000002E0E4: BF800000
	v_cndmask_b32_e64 v125, v64, v125, s[40:41]                // 00000002E0E8: D100007D 00A2FB40
	v_cmp_lt_u32_e64 s[40:41], v242, v65                       // 00000002E0F0: D0C90028 000283F2
	v_add_u32_e32 v242, 64, v242                               // 00000002E0F8: 69E5E4C0
	s_nop 0                                                    // 00000002E0FC: BF800000
	v_cndmask_b32_e64 v126, v64, v126, s[40:41]                // 00000002E100: D100007E 00A2FD40
	v_cmp_lt_u32_e64 s[40:41], v243, v65                       // 00000002E108: D0C90028 000283F3
	v_add_u32_e32 v243, 64, v243                               // 00000002E110: 69E7E6C0
	s_nop 0                                                    // 00000002E114: BF800000
	v_cndmask_b32_e64 v127, v64, v127, s[40:41]                // 00000002E118: D100007F 00A2FF40
	v_mov_b32_e32 v48, v112                                    // 00000002E120: 7E600370
	v_max3_f32 v48, v112, v113, v48                            // 00000002E124: D1D30030 04C2E370
	v_max3_f32 v48, v114, v115, v48                            // 00000002E12C: D1D30030 04C2E772
	v_max3_f32 v48, v116, v117, v48                            // 00000002E134: D1D30030 04C2EB74
	v_max3_f32 v48, v118, v119, v48                            // 00000002E13C: D1D30030 04C2EF76
	v_max3_f32 v48, v120, v121, v48                            // 00000002E144: D1D30030 04C2F378
	v_max3_f32 v48, v122, v123, v48                            // 00000002E14C: D1D30030 04C2F77A
	v_max3_f32 v48, v124, v125, v48                            // 00000002E154: D1D30030 04C2FB7C
	v_max3_f32 v48, v126, v127, v48                            // 00000002E15C: D1D30030 04C2FF7E
	ds_write_b32 v8, v48 offset:16896                          // 00000002E164: D81A4200 00003008
	v_mul_u32_u24_dpp v64, v16, v54 row_newbcast:1 row_mask:0xf bank_mask:0xf// 00000002E16C: 10806CFA FF015110
	v_mul_u32_u24_dpp v65, v16, v54 row_newbcast:5 row_mask:0xf bank_mask:0xf// 00000002E174: 10826CFA FF015510
	v_mul_u32_u24_dpp v66, v16, v54 row_newbcast:9 row_mask:0xf bank_mask:0xf// 00000002E17C: 10846CFA FF015910
	v_mul_u32_u24_dpp v67, v16, v54 row_newbcast:13 row_mask:0xf bank_mask:0xf// 00000002E184: 10866CFA FF015D10
	v_add_u32_e32 v30, v64, v6                                 // 00000002E18C: 683C0D40
	v_add_u32_e32 v31, v65, v6                                 // 00000002E190: 683E0D41
	v_add_u32_e32 v32, v66, v6                                 // 00000002E194: 68400D42
	v_add_u32_e32 v33, v67, v6                                 // 00000002E198: 68420D43
	v_mul_f32_e32 v208, v49, v208                              // 00000002E19C: 0BA1A131
	v_mul_f32_e32 v209, v49, v209                              // 00000002E1A0: 0BA3A331
	v_mul_f32_e32 v210, v49, v210                              // 00000002E1A4: 0BA5A531
	v_mul_f32_e32 v211, v49, v211                              // 00000002E1A8: 0BA7A731
	v_mul_f32_e32 v212, v49, v212                              // 00000002E1AC: 0BA9A931
	v_mul_f32_e32 v213, v49, v213                              // 00000002E1B0: 0BABAB31
	v_mul_f32_e32 v214, v49, v214                              // 00000002E1B4: 0BADAD31
	v_mul_f32_e32 v215, v49, v215                              // 00000002E1B8: 0BAFAF31
	s_waitcnt lgkmcnt(0)                                       // 00000002E1BC: BF8CC07F
	s_barrier                                                  // 00000002E1C0: BF8A0000
	ds_read_b32 v64, v7 offset:16896                           // 00000002E1C4: D86C4200 40000007
	ds_read_b32 v65, v7 offset:16960                           // 00000002E1CC: D86C4240 41000007
	ds_read_b32 v66, v7 offset:17024                           // 00000002E1D4: D86C4280 42000007
	ds_read_b32 v67, v7 offset:17088                           // 00000002E1DC: D86C42C0 43000007
	ds_read_b32 v68, v7 offset:17152                           // 00000002E1E4: D86C4300 44000007
	ds_read_b32 v69, v7 offset:17216                           // 00000002E1EC: D86C4340 45000007
	ds_read_b32 v70, v7 offset:17280                           // 00000002E1F4: D86C4380 46000007
	ds_read_b32 v71, v7 offset:17344                           // 00000002E1FC: D86C43C0 47000007
	ds_read_b32 v72, v7 offset:17408                           // 00000002E204: D86C4400 48000007
	ds_read_b32 v73, v7 offset:17472                           // 00000002E20C: D86C4440 49000007
	ds_read_b32 v74, v7 offset:17536                           // 00000002E214: D86C4480 4A000007
	ds_read_b32 v75, v7 offset:17600                           // 00000002E21C: D86C44C0 4B000007
	ds_read_b32 v76, v7 offset:17664                           // 00000002E224: D86C4500 4C000007
	ds_read_b32 v77, v7 offset:17728                           // 00000002E22C: D86C4540 4D000007
	ds_read_b32 v78, v7 offset:17792                           // 00000002E234: D86C4580 4E000007
	ds_read_b32 v79, v7 offset:17856                           // 00000002E23C: D86C45C0 4F000007
	v_cvt_f32_i32_e32 v176, v176                               // 00000002E244: 7F600BB0
	v_cvt_f32_i32_e32 v177, v177                               // 00000002E248: 7F620BB1
	v_cvt_f32_i32_e32 v178, v178                               // 00000002E24C: 7F640BB2
	v_cvt_f32_i32_e32 v179, v179                               // 00000002E250: 7F660BB3
	v_cvt_f32_i32_e32 v180, v180                               // 00000002E254: 7F680BB4
	v_cvt_f32_i32_e32 v181, v181                               // 00000002E258: 7F6A0BB5
	v_cvt_f32_i32_e32 v182, v182                               // 00000002E25C: 7F6C0BB6
	v_cvt_f32_i32_e32 v183, v183                               // 00000002E260: 7F6E0BB7
	v_mul_f32_e32 v176, v44, v176                              // 00000002E264: 0B61612C
	v_mul_f32_e32 v177, v44, v177                              // 00000002E268: 0B63632C
	v_mul_f32_e32 v178, v44, v178                              // 00000002E26C: 0B65652C
	v_mul_f32_e32 v179, v44, v179                              // 00000002E270: 0B67672C
	v_mul_f32_e32 v180, v44, v180                              // 00000002E274: 0B69692C
	v_mul_f32_e32 v181, v44, v181                              // 00000002E278: 0B6B6B2C
	v_mul_f32_e32 v182, v44, v182                              // 00000002E27C: 0B6D6D2C
	v_mul_f32_e32 v183, v44, v183                              // 00000002E280: 0B6F6F2C
	s_waitcnt lgkmcnt(0)                                       // 00000002E284: BF8CC07F
	v_max3_f32 v48, v64, v65, v48                              // 00000002E288: D1D30030 04C28340
	v_max3_f32 v48, v66, v67, v48                              // 00000002E290: D1D30030 04C28742
	v_max3_f32 v48, v68, v69, v48                              // 00000002E298: D1D30030 04C28B44
	v_max3_f32 v48, v70, v71, v48                              // 00000002E2A0: D1D30030 04C28F46
	v_max3_f32 v48, v72, v73, v48                              // 00000002E2A8: D1D30030 04C29348
	v_max3_f32 v48, v74, v75, v48                              // 00000002E2B0: D1D30030 04C2974A
	v_max3_f32 v48, v76, v77, v48                              // 00000002E2B8: D1D30030 04C29B4C
	v_max3_f32 v48, v78, v79, v48                              // 00000002E2C0: D1D30030 04C29F4E
	v_mov_b32_e32 v64, 0xff800000                              // 00000002E2C8: 7E8002FF FF800000
	v_cmp_eq_u32_e64 s[40:41], v64, v11                        // 00000002E2D0: D0CA0028 00021740
	s_nop 1                                                    // 00000002E2D8: BF800001
	v_max_f32_e32 v15, v48, v11                                // 00000002E2DC: 161E1730
	v_mul_f32_e32 v53, s64, v15                                // 00000002E2E0: 0A6A1E40
	v_fma_f32 v112, v112, s64, -v53                            // 00000002E2E4: D1CB0070 84D48170
	v_fma_f32 v113, v113, s64, -v53                            // 00000002E2EC: D1CB0071 84D48171
	v_fma_f32 v114, v114, s64, -v53                            // 00000002E2F4: D1CB0072 84D48172
	v_fma_f32 v115, v115, s64, -v53                            // 00000002E2FC: D1CB0073 84D48173
	v_fma_f32 v116, v116, s64, -v53                            // 00000002E304: D1CB0074 84D48174
	v_fma_f32 v117, v117, s64, -v53                            // 00000002E30C: D1CB0075 84D48175
	v_fma_f32 v118, v118, s64, -v53                            // 00000002E314: D1CB0076 84D48176
	v_fma_f32 v119, v119, s64, -v53                            // 00000002E31C: D1CB0077 84D48177
	v_fma_f32 v120, v120, s64, -v53                            // 00000002E324: D1CB0078 84D48178
	v_fma_f32 v121, v121, s64, -v53                            // 00000002E32C: D1CB0079 84D48179
	v_fma_f32 v122, v122, s64, -v53                            // 00000002E334: D1CB007A 84D4817A
	v_fma_f32 v123, v123, s64, -v53                            // 00000002E33C: D1CB007B 84D4817B
	v_fma_f32 v124, v124, s64, -v53                            // 00000002E344: D1CB007C 84D4817C
	v_fma_f32 v125, v125, s64, -v53                            // 00000002E34C: D1CB007D 84D4817D
	v_fma_f32 v126, v126, s64, -v53                            // 00000002E354: D1CB007E 84D4817E
	v_fma_f32 v127, v127, s64, -v53                            // 00000002E35C: D1CB007F 84D4817F
	v_exp_f32_e32 v112, v112                                   // 00000002E364: 7EE04170
	v_exp_f32_e32 v113, v113                                   // 00000002E368: 7EE24171
	v_exp_f32_e32 v114, v114                                   // 00000002E36C: 7EE44172
	v_exp_f32_e32 v115, v115                                   // 00000002E370: 7EE64173
	v_exp_f32_e32 v116, v116                                   // 00000002E374: 7EE84174
	v_exp_f32_e32 v117, v117                                   // 00000002E378: 7EEA4175
	v_exp_f32_e32 v118, v118                                   // 00000002E37C: 7EEC4176
	v_exp_f32_e32 v119, v119                                   // 00000002E380: 7EEE4177
	v_exp_f32_e32 v120, v120                                   // 00000002E384: 7EF04178
	v_exp_f32_e32 v121, v121                                   // 00000002E388: 7EF24179
	v_exp_f32_e32 v122, v122                                   // 00000002E38C: 7EF4417A
	v_exp_f32_e32 v123, v123                                   // 00000002E390: 7EF6417B
	v_exp_f32_e32 v124, v124                                   // 00000002E394: 7EF8417C
	v_exp_f32_e32 v125, v125                                   // 00000002E398: 7EFA417D
	v_exp_f32_e32 v126, v126                                   // 00000002E39C: 7EFC417E
	v_exp_f32_e32 v127, v127                                   // 00000002E3A0: 7EFE417F
	v_mul_f32_dpp v240, v252, v112 quad_perm:[0,0,0,0] row_mask:0xf bank_mask:0xf// 00000002E3A4: 0BE0E0FA FF0000FC
	v_mul_f32_dpp v241, v252, v113 quad_perm:[1,1,1,1] row_mask:0xf bank_mask:0xf// 00000002E3AC: 0BE2E2FA FF0055FC
	v_mul_f32_dpp v242, v252, v114 quad_perm:[2,2,2,2] row_mask:0xf bank_mask:0xf// 00000002E3B4: 0BE4E4FA FF00AAFC
	v_mul_f32_dpp v243, v252, v115 quad_perm:[3,3,3,3] row_mask:0xf bank_mask:0xf// 00000002E3BC: 0BE6E6FA FF00FFFC
	v_mul_f32_dpp v244, v253, v116 quad_perm:[0,0,0,0] row_mask:0xf bank_mask:0xf// 00000002E3C4: 0BE8E8FA FF0000FD
	v_mul_f32_dpp v245, v253, v117 quad_perm:[1,1,1,1] row_mask:0xf bank_mask:0xf// 00000002E3CC: 0BEAEAFA FF0055FD
	v_mul_f32_dpp v246, v253, v118 quad_perm:[2,2,2,2] row_mask:0xf bank_mask:0xf// 00000002E3D4: 0BECECFA FF00AAFD
	v_mul_f32_dpp v247, v253, v119 quad_perm:[3,3,3,3] row_mask:0xf bank_mask:0xf// 00000002E3DC: 0BEEEEFA FF00FFFD
	v_mul_f32_dpp v248, v254, v120 quad_perm:[0,0,0,0] row_mask:0xf bank_mask:0xf// 00000002E3E4: 0BF0F0FA FF0000FE
	v_mul_f32_dpp v249, v254, v121 quad_perm:[1,1,1,1] row_mask:0xf bank_mask:0xf// 00000002E3EC: 0BF2F2FA FF0055FE
	v_mul_f32_dpp v250, v254, v122 quad_perm:[2,2,2,2] row_mask:0xf bank_mask:0xf// 00000002E3F4: 0BF4F4FA FF00AAFE
	v_mul_f32_dpp v251, v254, v123 quad_perm:[3,3,3,3] row_mask:0xf bank_mask:0xf// 00000002E3FC: 0BF6F6FA FF00FFFE
	v_mul_f32_dpp v252, v255, v124 quad_perm:[0,0,0,0] row_mask:0xf bank_mask:0xf// 00000002E404: 0BF8F8FA FF0000FF
	v_mul_f32_dpp v253, v255, v125 quad_perm:[1,1,1,1] row_mask:0xf bank_mask:0xf// 00000002E40C: 0BFAFAFA FF0055FF
	v_mul_f32_dpp v254, v255, v126 quad_perm:[2,2,2,2] row_mask:0xf bank_mask:0xf// 00000002E414: 0BFCFCFA FF00AAFF
	v_mul_f32_dpp v255, v255, v127 quad_perm:[3,3,3,3] row_mask:0xf bank_mask:0xf// 00000002E41C: 0BFEFEFA FF00FFFF
	v_mov_b32_e32 v48, 0x358637bd                              // 00000002E424: 7E6002FF 358637BD
	v_max3_f32 v48, |v240|, |v241|, v48                        // 00000002E42C: D1D30330 04C3E3F0
	v_max3_f32 v48, |v242|, |v243|, v48                        // 00000002E434: D1D30330 04C3E7F2
	v_max3_f32 v48, |v244|, |v245|, v48                        // 00000002E43C: D1D30330 04C3EBF4
	v_max3_f32 v48, |v246|, |v247|, v48                        // 00000002E444: D1D30330 04C3EFF6
	v_max3_f32 v48, |v248|, |v249|, v48                        // 00000002E44C: D1D30330 04C3F3F8
	v_max3_f32 v48, |v250|, |v251|, v48                        // 00000002E454: D1D30330 04C3F7FA
	v_max3_f32 v48, |v252|, |v253|, v48                        // 00000002E45C: D1D30330 04C3FBFC
	v_max3_f32 v48, |v254|, |v255|, v48                        // 00000002E464: D1D30330 04C3FFFE
	ds_write_b32 v8, v48 offset:20992                          // 00000002E46C: D81A5200 00003008
	v_sub_f32_e32 v49, v11, v15                                // 00000002E474: 04621F0B
	v_cndmask_b32_e64 v49, v49, 0, s[40:41]                    // 00000002E478: D1000031 00A10131
	v_mov_b32_e32 v11, v15                                     // 00000002E480: 7E16030F
	v_mul_f32_e32 v49, s64, v49                                // 00000002E484: 0A626240
	v_exp_f32_e32 v49, v49                                     // 00000002E488: 7E624131
	s_waitcnt lgkmcnt(0)                                       // 00000002E48C: BF8CC07F
	s_barrier                                                  // 00000002E490: BF8A0000
	ds_read_b32 v64, v7 offset:20992                           // 00000002E494: D86C5200 40000007
	ds_read_b32 v65, v7 offset:21056                           // 00000002E49C: D86C5240 41000007
	ds_read_b32 v66, v7 offset:21120                           // 00000002E4A4: D86C5280 42000007
	ds_read_b32 v67, v7 offset:21184                           // 00000002E4AC: D86C52C0 43000007
	ds_read_b32 v68, v7 offset:21248                           // 00000002E4B4: D86C5300 44000007
	ds_read_b32 v69, v7 offset:21312                           // 00000002E4BC: D86C5340 45000007
	ds_read_b32 v70, v7 offset:21376                           // 00000002E4C4: D86C5380 46000007
	ds_read_b32 v71, v7 offset:21440                           // 00000002E4CC: D86C53C0 47000007
	ds_read_b32 v72, v7 offset:21504                           // 00000002E4D4: D86C5400 48000007
	ds_read_b32 v73, v7 offset:21568                           // 00000002E4DC: D86C5440 49000007
	ds_read_b32 v74, v7 offset:21632                           // 00000002E4E4: D86C5480 4A000007
	ds_read_b32 v75, v7 offset:21696                           // 00000002E4EC: D86C54C0 4B000007
	ds_read_b32 v76, v7 offset:21760                           // 00000002E4F4: D86C5500 4C000007
	ds_read_b32 v77, v7 offset:21824                           // 00000002E4FC: D86C5540 4D000007
	ds_read_b32 v78, v7 offset:21888                           // 00000002E504: D86C5580 4E000007
	ds_read_b32 v79, v7 offset:21952                           // 00000002E50C: D86C55C0 4F000007
	v_mul_f32_e32 v38, v49, v38                                // 00000002E514: 0A4C4D31
	v_mov_b32_e32 v15, v112                                    // 00000002E518: 7E1E0370
	v_add_f32_e32 v15, v113, v15                               // 00000002E51C: 021E1F71
	v_add_f32_e32 v15, v114, v15                               // 00000002E520: 021E1F72
	v_add_f32_e32 v15, v115, v15                               // 00000002E524: 021E1F73
	v_add_f32_e32 v15, v116, v15                               // 00000002E528: 021E1F74
	v_add_f32_e32 v15, v117, v15                               // 00000002E52C: 021E1F75
	v_add_f32_e32 v15, v118, v15                               // 00000002E530: 021E1F76
	v_add_f32_e32 v15, v119, v15                               // 00000002E534: 021E1F77
	v_add_f32_e32 v15, v120, v15                               // 00000002E538: 021E1F78
	v_add_f32_e32 v15, v121, v15                               // 00000002E53C: 021E1F79
	v_add_f32_e32 v15, v122, v15                               // 00000002E540: 021E1F7A
	v_add_f32_e32 v15, v123, v15                               // 00000002E544: 021E1F7B
	v_add_f32_e32 v15, v124, v15                               // 00000002E548: 021E1F7C
	v_add_f32_e32 v15, v125, v15                               // 00000002E54C: 021E1F7D
	v_add_f32_e32 v15, v126, v15                               // 00000002E550: 021E1F7E
	v_add_f32_e32 v15, v127, v15                               // 00000002E554: 021E1F7F
	v_add_f32_e32 v38, v15, v38                                // 00000002E558: 024C4D0F
	s_waitcnt lgkmcnt(0)                                       // 00000002E55C: BF8CC07F
	v_max3_f32 v48, |v64|, |v65|, v48                          // 00000002E560: D1D30330 04C28340
	v_max3_f32 v48, |v66|, |v67|, v48                          // 00000002E568: D1D30330 04C28742
	v_max3_f32 v48, |v68|, |v69|, v48                          // 00000002E570: D1D30330 04C28B44
	v_max3_f32 v48, |v70|, |v71|, v48                          // 00000002E578: D1D30330 04C28F46
	v_max3_f32 v48, |v72|, |v73|, v48                          // 00000002E580: D1D30330 04C29348
	v_max3_f32 v48, |v74|, |v75|, v48                          // 00000002E588: D1D30330 04C2974A
	v_max3_f32 v48, |v76|, |v77|, v48                          // 00000002E590: D1D30330 04C29B4C
	v_max3_f32 v48, |v78|, |v79|, v48                          // 00000002E598: D1D30330 04C29F4E
	s_nop 2                                                    // 00000002E5A0: BF800002
	v_rcp_f32_e32 v48, v48                                     // 00000002E5A4: 7E604530
	s_nop 1                                                    // 00000002E5A8: BF800001
	v_mul_f32_e32 v48, 0x42fe0000, v48                         // 00000002E5AC: 0A6060FF 42FE0000
	v_mul_f32_e32 v112, v48, v240                              // 00000002E5B4: 0AE1E130
	v_mul_f32_e32 v113, v48, v241                              // 00000002E5B8: 0AE3E330
	v_mul_f32_e32 v114, v48, v242                              // 00000002E5BC: 0AE5E530
	v_mul_f32_e32 v115, v48, v243                              // 00000002E5C0: 0AE7E730
	v_mul_f32_e32 v116, v48, v244                              // 00000002E5C4: 0AE9E930
	v_mul_f32_e32 v117, v48, v245                              // 00000002E5C8: 0AEBEB30
	v_mul_f32_e32 v118, v48, v246                              // 00000002E5CC: 0AEDED30
	v_mul_f32_e32 v119, v48, v247                              // 00000002E5D0: 0AEFEF30
	v_mul_f32_e32 v120, v48, v248                              // 00000002E5D4: 0AF1F130
	v_mul_f32_e32 v121, v48, v249                              // 00000002E5D8: 0AF3F330
	v_mul_f32_e32 v122, v48, v250                              // 00000002E5DC: 0AF5F530
	v_mul_f32_e32 v123, v48, v251                              // 00000002E5E0: 0AF7F730
	v_mul_f32_e32 v124, v48, v252                              // 00000002E5E4: 0AF9F930
	v_mul_f32_e32 v125, v48, v253                              // 00000002E5E8: 0AFBFB30
	v_mul_f32_e32 v126, v48, v254                              // 00000002E5EC: 0AFDFD30
	v_mul_f32_e32 v127, v48, v255                              // 00000002E5F0: 0AFFFF30
	v_cvt_i32_f32_e32 v112, v112                               // 00000002E5F4: 7EE01170
	v_cvt_i32_f32_e32 v113, v113                               // 00000002E5F8: 7EE21171
	v_cvt_i32_f32_e32 v114, v114                               // 00000002E5FC: 7EE41172
	v_cvt_i32_f32_e32 v115, v115                               // 00000002E600: 7EE61173
	v_cvt_i32_f32_e32 v116, v116                               // 00000002E604: 7EE81174
	v_cvt_i32_f32_e32 v117, v117                               // 00000002E608: 7EEA1175
	v_cvt_i32_f32_e32 v118, v118                               // 00000002E60C: 7EEC1176
	v_cvt_i32_f32_e32 v119, v119                               // 00000002E610: 7EEE1177
	v_cvt_i32_f32_e32 v120, v120                               // 00000002E614: 7EF01178
	v_cvt_i32_f32_e32 v121, v121                               // 00000002E618: 7EF21179
	v_cvt_i32_f32_e32 v122, v122                               // 00000002E61C: 7EF4117A
	v_cvt_i32_f32_e32 v123, v123                               // 00000002E620: 7EF6117B
	v_cvt_i32_f32_e32 v124, v124                               // 00000002E624: 7EF8117C
	v_cvt_i32_f32_e32 v125, v125                               // 00000002E628: 7EFA117D
	v_cvt_i32_f32_e32 v126, v126                               // 00000002E62C: 7EFC117E
	v_cvt_i32_f32_e32 v127, v127                               // 00000002E630: 7EFE117F
	v_perm_b32 v112, v113, v112, s53                           // 00000002E634: D1ED0070 00D6E171
	v_perm_b32 v112, v114, v112, s54                           // 00000002E63C: D1ED0070 00DAE172
	v_perm_b32 v112, v115, v112, s55                           // 00000002E644: D1ED0070 00DEE173
	v_perm_b32 v113, v117, v116, s53                           // 00000002E64C: D1ED0071 00D6E975
	v_perm_b32 v113, v118, v113, s54                           // 00000002E654: D1ED0071 00DAE376
	v_perm_b32 v113, v119, v113, s55                           // 00000002E65C: D1ED0071 00DEE377
	v_perm_b32 v114, v121, v120, s53                           // 00000002E664: D1ED0072 00D6F179
	v_perm_b32 v114, v122, v114, s54                           // 00000002E66C: D1ED0072 00DAE57A
	v_perm_b32 v114, v123, v114, s55                           // 00000002E674: D1ED0072 00DEE57B
	v_perm_b32 v115, v125, v124, s53                           // 00000002E67C: D1ED0073 00D6F97D
	v_perm_b32 v115, v126, v115, s54                           // 00000002E684: D1ED0073 00DAE77E
	v_perm_b32 v115, v127, v115, s55                           // 00000002E68C: D1ED0073 00DEE77F
	ds_write_b32 v10, v112 offset:25088                        // 00000002E694: D81A6200 0000700A
	ds_write_b32 v10, v113 offset:26112                        // 00000002E69C: D81A6600 0000710A
	ds_write_b32 v10, v114 offset:27136                        // 00000002E6A4: D81A6A00 0000720A
	ds_write_b32 v10, v115 offset:28160                        // 00000002E6AC: D81A6E00 0000730A
	v_add_f32_e32 v208, v208, v176                             // 00000002E6B4: 03A161D0
	v_add_f32_e32 v209, v209, v177                             // 00000002E6B8: 03A363D1
	v_add_f32_e32 v210, v210, v178                             // 00000002E6BC: 03A565D2
	v_add_f32_e32 v211, v211, v179                             // 00000002E6C0: 03A767D3
	v_add_f32_e32 v212, v212, v180                             // 00000002E6C4: 03A969D4
	v_add_f32_e32 v213, v213, v181                             // 00000002E6C8: 03AB6BD5
	v_add_f32_e32 v214, v214, v182                             // 00000002E6CC: 03AD6DD6
	v_add_f32_e32 v215, v215, v183                             // 00000002E6D0: 03AF6FD7
	v_rcp_f32_e32 v44, v48                                     // 00000002E6D4: 7E584530
	s_waitcnt lgkmcnt(0)                                       // 00000002E6D8: BF8CC07F
	s_barrier                                                  // 00000002E6DC: BF8A0000
	ds_read_b64 v[112:113], v9 offset:25088                    // 00000002E6E0: D8EC6200 70000009
	ds_read_b64 v[114:115], v9 offset:25216                    // 00000002E6E8: D8EC6280 72000009
	ds_read_b64 v[116:117], v9 offset:26112                    // 00000002E6F0: D8EC6600 74000009
	ds_read_b64 v[118:119], v9 offset:26240                    // 00000002E6F8: D8EC6680 76000009
	ds_read_b64 v[120:121], v9 offset:27136                    // 00000002E700: D8EC6A00 78000009
	ds_read_b64 v[122:123], v9 offset:27264                    // 00000002E708: D8EC6A80 7A000009
	ds_read_b64 v[124:125], v9 offset:28160                    // 00000002E710: D8EC6E00 7C000009
	ds_read_b64 v[126:127], v9 offset:28288                    // 00000002E718: D8EC6E80 7E000009
	v_mov_b32_dpp v64, v43 row_shr:4 row_mask:0xf bank_mask:0xf// 00000002E720: 7E8002FA FF01142B
	v_mov_b32_dpp v65, v43 row_shl:4 row_mask:0xf bank_mask:0xf// 00000002E728: 7E8202FA FF01042B
	v_cndmask_b32_e64 v248, v43, v64, s[44:45]                 // 00000002E730: D10000F8 00B2812B
	v_cndmask_b32_e64 v249, v65, v43, s[44:45]                 // 00000002E738: D10000F9 00B25741
	v_mov_b32_dpp v64, v248 row_shr:8 row_mask:0xf bank_mask:0xf// 00000002E740: 7E8002FA FF0118F8
	v_mov_b32_dpp v65, v248 row_shl:8 row_mask:0xf bank_mask:0xf// 00000002E748: 7E8202FA FF0108F8
	v_mov_b32_dpp v66, v249 row_shr:8 row_mask:0xf bank_mask:0xf// 00000002E750: 7E8402FA FF0118F9
	v_mov_b32_dpp v67, v249 row_shl:8 row_mask:0xf bank_mask:0xf// 00000002E758: 7E8602FA FF0108F9
	v_mov_b32_e32 v68, v248                                    // 00000002E760: 7E8803F8
	v_mov_b32_e32 v69, v249                                    // 00000002E764: 7E8A03F9
	v_cndmask_b32_e64 v248, v68, v64, s[42:43]                 // 00000002E768: D10000F8 00AA8144
	v_cndmask_b32_e64 v250, v68, v65, s[78:79]                 // 00000002E770: D10000FA 013A8344
	v_cndmask_b32_e64 v249, v69, v66, s[42:43]                 // 00000002E778: D10000F9 00AA8545
	v_cndmask_b32_e64 v251, v69, v67, s[78:79]                 // 00000002E780: D10000FB 013A8745
	v_mov_b32_dpp v64, v58 row_shr:4 row_mask:0xf bank_mask:0xf// 00000002E788: 7E8002FA FF01143A
	v_mov_b32_dpp v65, v58 row_shl:4 row_mask:0xf bank_mask:0xf// 00000002E790: 7E8202FA FF01043A
	v_cndmask_b32_e64 v252, v58, v64, s[44:45]                 // 00000002E798: D10000FC 00B2813A
	v_cndmask_b32_e64 v253, v65, v58, s[44:45]                 // 00000002E7A0: D10000FD 00B27541
	v_mov_b32_dpp v64, v252 row_shr:8 row_mask:0xf bank_mask:0xf// 00000002E7A8: 7E8002FA FF0118FC
	v_mov_b32_dpp v65, v252 row_shl:8 row_mask:0xf bank_mask:0xf// 00000002E7B0: 7E8202FA FF0108FC
	v_mov_b32_dpp v66, v253 row_shr:8 row_mask:0xf bank_mask:0xf// 00000002E7B8: 7E8402FA FF0118FD
	v_mov_b32_dpp v67, v253 row_shl:8 row_mask:0xf bank_mask:0xf// 00000002E7C0: 7E8602FA FF0108FD
	v_mov_b32_e32 v68, v252                                    // 00000002E7C8: 7E8803FC
	v_mov_b32_e32 v69, v253                                    // 00000002E7CC: 7E8A03FD
	v_cndmask_b32_e64 v252, v68, v64, s[42:43]                 // 00000002E7D0: D10000FC 00AA8144
	v_cndmask_b32_e64 v254, v68, v65, s[78:79]                 // 00000002E7D8: D10000FE 013A8344
	v_cndmask_b32_e64 v253, v69, v66, s[42:43]                 // 00000002E7E0: D10000FD 00AA8545
	v_cndmask_b32_e64 v255, v69, v67, s[78:79]                 // 00000002E7E8: D10000FF 013A8745
	v_cvt_f32_i32_e32 v128, v128                               // 00000002E7F0: 7F000B80
	v_cvt_f32_i32_e32 v129, v129                               // 00000002E7F4: 7F020B81
	v_cvt_f32_i32_e32 v130, v130                               // 00000002E7F8: 7F040B82
	v_cvt_f32_i32_e32 v131, v131                               // 00000002E7FC: 7F060B83
	v_cvt_f32_i32_e32 v132, v132                               // 00000002E800: 7F080B84
	v_cvt_f32_i32_e32 v133, v133                               // 00000002E804: 7F0A0B85
	v_cvt_f32_i32_e32 v134, v134                               // 00000002E808: 7F0C0B86
	v_cvt_f32_i32_e32 v135, v135                               // 00000002E80C: 7F0E0B87
	v_cvt_f32_i32_e32 v136, v136                               // 00000002E810: 7F100B88
	v_cvt_f32_i32_e32 v137, v137                               // 00000002E814: 7F120B89
	v_cvt_f32_i32_e32 v138, v138                               // 00000002E818: 7F140B8A
	v_cvt_f32_i32_e32 v139, v139                               // 00000002E81C: 7F160B8B
	v_cvt_f32_i32_e32 v140, v140                               // 00000002E820: 7F180B8C
	v_cvt_f32_i32_e32 v141, v141                               // 00000002E824: 7F1A0B8D
	v_cvt_f32_i32_e32 v142, v142                               // 00000002E828: 7F1C0B8E
	v_cvt_f32_i32_e32 v143, v143                               // 00000002E82C: 7F1E0B8F
	v_mul_f32_e32 v128, v19, v128                              // 00000002E830: 0B010113
	v_mul_f32_e32 v129, v19, v129                              // 00000002E834: 0B030313
	v_mul_f32_e32 v130, v19, v130                              // 00000002E838: 0B050513
	v_mul_f32_e32 v131, v19, v131                              // 00000002E83C: 0B070713
	v_mul_f32_e32 v132, v19, v132                              // 00000002E840: 0B090913
	v_mul_f32_e32 v133, v19, v133                              // 00000002E844: 0B0B0B13
	v_mul_f32_e32 v134, v19, v134                              // 00000002E848: 0B0D0D13
	v_mul_f32_e32 v135, v19, v135                              // 00000002E84C: 0B0F0F13
	v_mul_f32_e32 v136, v19, v136                              // 00000002E850: 0B111113
	v_mul_f32_e32 v137, v19, v137                              // 00000002E854: 0B131313
	v_mul_f32_e32 v138, v19, v138                              // 00000002E858: 0B151513
	v_mul_f32_e32 v139, v19, v139                              // 00000002E85C: 0B171713
	v_mul_f32_e32 v140, v19, v140                              // 00000002E860: 0B191913
	v_mul_f32_e32 v141, v19, v141                              // 00000002E864: 0B1B1B13
	v_mul_f32_e32 v142, v19, v142                              // 00000002E868: 0B1D1D13
	v_mul_f32_e32 v143, v19, v143                              // 00000002E86C: 0B1F1F13
	v_mul_f32_dpp v128, v248, v128 quad_perm:[0,0,0,0] row_mask:0xf bank_mask:0xf// 00000002E870: 0B0100FA FF0000F8
	v_mul_f32_dpp v129, v248, v129 quad_perm:[1,1,1,1] row_mask:0xf bank_mask:0xf// 00000002E878: 0B0302FA FF0055F8
	v_mul_f32_dpp v130, v248, v130 quad_perm:[2,2,2,2] row_mask:0xf bank_mask:0xf// 00000002E880: 0B0504FA FF00AAF8
	v_mul_f32_dpp v131, v248, v131 quad_perm:[3,3,3,3] row_mask:0xf bank_mask:0xf// 00000002E888: 0B0706FA FF00FFF8
	v_mul_f32_dpp v132, v249, v132 quad_perm:[0,0,0,0] row_mask:0xf bank_mask:0xf// 00000002E890: 0B0908FA FF0000F9
	v_mul_f32_dpp v133, v249, v133 quad_perm:[1,1,1,1] row_mask:0xf bank_mask:0xf// 00000002E898: 0B0B0AFA FF0055F9
	v_mul_f32_dpp v134, v249, v134 quad_perm:[2,2,2,2] row_mask:0xf bank_mask:0xf// 00000002E8A0: 0B0D0CFA FF00AAF9
	v_mul_f32_dpp v135, v249, v135 quad_perm:[3,3,3,3] row_mask:0xf bank_mask:0xf// 00000002E8A8: 0B0F0EFA FF00FFF9
	v_mul_f32_dpp v136, v250, v136 quad_perm:[0,0,0,0] row_mask:0xf bank_mask:0xf// 00000002E8B0: 0B1110FA FF0000FA
	v_mul_f32_dpp v137, v250, v137 quad_perm:[1,1,1,1] row_mask:0xf bank_mask:0xf// 00000002E8B8: 0B1312FA FF0055FA
	v_mul_f32_dpp v138, v250, v138 quad_perm:[2,2,2,2] row_mask:0xf bank_mask:0xf// 00000002E8C0: 0B1514FA FF00AAFA
	v_mul_f32_dpp v139, v250, v139 quad_perm:[3,3,3,3] row_mask:0xf bank_mask:0xf// 00000002E8C8: 0B1716FA FF00FFFA
	v_mul_f32_dpp v140, v251, v140 quad_perm:[0,0,0,0] row_mask:0xf bank_mask:0xf// 00000002E8D0: 0B1918FA FF0000FB
	v_mul_f32_dpp v141, v251, v141 quad_perm:[1,1,1,1] row_mask:0xf bank_mask:0xf// 00000002E8D8: 0B1B1AFA FF0055FB
	v_mul_f32_dpp v142, v251, v142 quad_perm:[2,2,2,2] row_mask:0xf bank_mask:0xf// 00000002E8E0: 0B1D1CFA FF00AAFB
	v_mul_f32_dpp v143, v251, v143 quad_perm:[3,3,3,3] row_mask:0xf bank_mask:0xf// 00000002E8E8: 0B1F1EFA FF00FFFB
	s_cmp_le_i32 s90, s89                                      // 00000002E8F0: BF05595A
	s_cbranch_scc1 label_B22F                                  // 00000002E8F4: BF850071
	v_mov_b32_e32 v66, 0xff800000                              // 00000002E8F8: 7E8402FF FF800000
	s_mov_b32 s60, s90                                         // 00000002E900: BEBC005A
	s_add_u32 s61, s89, 0xff                                   // 00000002E904: 803DFF59 000000FF
	v_mov_b32_e32 v64, s61                                     // 00000002E90C: 7E80023D
	v_lshrrev_b32_e32 v240, 4, v0                              // 00000002E910: 21E00084
	v_mul_i32_i24_e32 v240, 4, v240                            // 00000002E914: 0DE1E084
	v_add_u32_e32 v240, s60, v240                              // 00000002E918: 69E1E03C
	s_mov_b32 s61, 1                                           // 00000002E91C: BEBD0081
	s_mul_i32 s60, 16, s7                                      // 00000002E920: 923C0790
	v_sub_u32_e64 v240, v240, s61                              // 00000002E924: D13500F0 00007BF0
	v_add_u32_e32 v240, s60, v240                              // 00000002E92C: 69E1E03C
	v_add_u32_e32 v241, 1, v240                                // 00000002E930: 69E3E081
	v_add_u32_e32 v242, 2, v240                                // 00000002E934: 69E5E082
	v_add_u32_e32 v243, 3, v240                                // 00000002E938: 69E7E083
	v_cmp_le_u32_e64 s[40:41], v240, v64                       // 00000002E93C: D0CB0028 000281F0
	v_add_u32_e32 v240, 64, v240                               // 00000002E944: 69E1E0C0
	s_nop 0                                                    // 00000002E948: BF800000
	v_cndmask_b32_e64 v128, v66, v128, s[40:41]                // 00000002E94C: D1000080 00A30142
	v_cmp_le_u32_e64 s[40:41], v241, v64                       // 00000002E954: D0CB0028 000281F1
	v_add_u32_e32 v241, 64, v241                               // 00000002E95C: 69E3E2C0
	s_nop 0                                                    // 00000002E960: BF800000
	v_cndmask_b32_e64 v129, v66, v129, s[40:41]                // 00000002E964: D1000081 00A30342
	v_cmp_le_u32_e64 s[40:41], v242, v64                       // 00000002E96C: D0CB0028 000281F2
	v_add_u32_e32 v242, 64, v242                               // 00000002E974: 69E5E4C0
	s_nop 0                                                    // 00000002E978: BF800000
	v_cndmask_b32_e64 v130, v66, v130, s[40:41]                // 00000002E97C: D1000082 00A30542
	v_cmp_le_u32_e64 s[40:41], v243, v64                       // 00000002E984: D0CB0028 000281F3
	v_add_u32_e32 v243, 64, v243                               // 00000002E98C: 69E7E6C0
	s_nop 0                                                    // 00000002E990: BF800000
	v_cndmask_b32_e64 v131, v66, v131, s[40:41]                // 00000002E994: D1000083 00A30742
	v_cmp_le_u32_e64 s[40:41], v240, v64                       // 00000002E99C: D0CB0028 000281F0
	v_add_u32_e32 v240, 64, v240                               // 00000002E9A4: 69E1E0C0
	s_nop 0                                                    // 00000002E9A8: BF800000
	v_cndmask_b32_e64 v132, v66, v132, s[40:41]                // 00000002E9AC: D1000084 00A30942
	v_cmp_le_u32_e64 s[40:41], v241, v64                       // 00000002E9B4: D0CB0028 000281F1
	v_add_u32_e32 v241, 64, v241                               // 00000002E9BC: 69E3E2C0
	s_nop 0                                                    // 00000002E9C0: BF800000
	v_cndmask_b32_e64 v133, v66, v133, s[40:41]                // 00000002E9C4: D1000085 00A30B42
	v_cmp_le_u32_e64 s[40:41], v242, v64                       // 00000002E9CC: D0CB0028 000281F2
	v_add_u32_e32 v242, 64, v242                               // 00000002E9D4: 69E5E4C0
	s_nop 0                                                    // 00000002E9D8: BF800000
	v_cndmask_b32_e64 v134, v66, v134, s[40:41]                // 00000002E9DC: D1000086 00A30D42
	v_cmp_le_u32_e64 s[40:41], v243, v64                       // 00000002E9E4: D0CB0028 000281F3
	v_add_u32_e32 v243, 64, v243                               // 00000002E9EC: 69E7E6C0
	s_nop 0                                                    // 00000002E9F0: BF800000
	v_cndmask_b32_e64 v135, v66, v135, s[40:41]                // 00000002E9F4: D1000087 00A30F42
	v_cmp_le_u32_e64 s[40:41], v240, v64                       // 00000002E9FC: D0CB0028 000281F0
	v_add_u32_e32 v240, 64, v240                               // 00000002EA04: 69E1E0C0
	s_nop 0                                                    // 00000002EA08: BF800000
	v_cndmask_b32_e64 v136, v66, v136, s[40:41]                // 00000002EA0C: D1000088 00A31142
	v_cmp_le_u32_e64 s[40:41], v241, v64                       // 00000002EA14: D0CB0028 000281F1
	v_add_u32_e32 v241, 64, v241                               // 00000002EA1C: 69E3E2C0
	s_nop 0                                                    // 00000002EA20: BF800000
	v_cndmask_b32_e64 v137, v66, v137, s[40:41]                // 00000002EA24: D1000089 00A31342
	v_cmp_le_u32_e64 s[40:41], v242, v64                       // 00000002EA2C: D0CB0028 000281F2
	v_add_u32_e32 v242, 64, v242                               // 00000002EA34: 69E5E4C0
	s_nop 0                                                    // 00000002EA38: BF800000
	v_cndmask_b32_e64 v138, v66, v138, s[40:41]                // 00000002EA3C: D100008A 00A31542
	v_cmp_le_u32_e64 s[40:41], v243, v64                       // 00000002EA44: D0CB0028 000281F3
	v_add_u32_e32 v243, 64, v243                               // 00000002EA4C: 69E7E6C0
	s_nop 0                                                    // 00000002EA50: BF800000
	v_cndmask_b32_e64 v139, v66, v139, s[40:41]                // 00000002EA54: D100008B 00A31742
	v_cmp_le_u32_e64 s[40:41], v240, v64                       // 00000002EA5C: D0CB0028 000281F0
	v_add_u32_e32 v240, 64, v240                               // 00000002EA64: 69E1E0C0
	s_nop 0                                                    // 00000002EA68: BF800000
	v_cndmask_b32_e64 v140, v66, v140, s[40:41]                // 00000002EA6C: D100008C 00A31942
	v_cmp_le_u32_e64 s[40:41], v241, v64                       // 00000002EA74: D0CB0028 000281F1
	v_add_u32_e32 v241, 64, v241                               // 00000002EA7C: 69E3E2C0
	s_nop 0                                                    // 00000002EA80: BF800000
	v_cndmask_b32_e64 v141, v66, v141, s[40:41]                // 00000002EA84: D100008D 00A31B42
	v_cmp_le_u32_e64 s[40:41], v242, v64                       // 00000002EA8C: D0CB0028 000281F2
	v_add_u32_e32 v242, 64, v242                               // 00000002EA94: 69E5E4C0
	s_nop 0                                                    // 00000002EA98: BF800000
	v_cndmask_b32_e64 v142, v66, v142, s[40:41]                // 00000002EA9C: D100008E 00A31D42
	v_cmp_le_u32_e64 s[40:41], v243, v64                       // 00000002EAA4: D0CB0028 000281F3
	v_add_u32_e32 v243, 64, v243                               // 00000002EAAC: 69E7E6C0
	s_nop 0                                                    // 00000002EAB0: BF800000
	v_cndmask_b32_e64 v143, v66, v143, s[40:41]                // 00000002EAB4: D100008F 00A31F42

000000000002eabc <label_B22F>:
	s_and_b32 s60, s72, 0xff                                   // 00000002EABC: 863CFF48 000000FF
	v_mov_b32_e32 v65, s60                                     // 00000002EAC4: 7E82023C
	v_lshrrev_b32_e32 v240, 4, v0                              // 00000002EAC8: 21E00084
	v_mul_i32_i24_e32 v240, 4, v240                            // 00000002EACC: 0DE1E084
	s_mul_i32 s60, s7, 16                                      // 00000002EAD0: 923C9007
	v_add_u32_e32 v240, s60, v240                              // 00000002EAD4: 69E1E03C
	v_add_u32_e32 v241, 1, v240                                // 00000002EAD8: 69E3E081
	v_add_u32_e32 v242, 2, v240                                // 00000002EADC: 69E5E082
	v_add_u32_e32 v243, 3, v240                                // 00000002EAE0: 69E7E083
	v_mov_b32_e32 v64, 0xff800000                              // 00000002EAE4: 7E8002FF FF800000
	v_cmp_lt_u32_e64 s[40:41], v240, v65                       // 00000002EAEC: D0C90028 000283F0
	v_add_u32_e32 v240, 64, v240                               // 00000002EAF4: 69E1E0C0
	s_nop 0                                                    // 00000002EAF8: BF800000
	v_cndmask_b32_e64 v128, v64, v128, s[40:41]                // 00000002EAFC: D1000080 00A30140
	v_cmp_lt_u32_e64 s[40:41], v241, v65                       // 00000002EB04: D0C90028 000283F1
	v_add_u32_e32 v241, 64, v241                               // 00000002EB0C: 69E3E2C0
	s_nop 0                                                    // 00000002EB10: BF800000
	v_cndmask_b32_e64 v129, v64, v129, s[40:41]                // 00000002EB14: D1000081 00A30340
	v_cmp_lt_u32_e64 s[40:41], v242, v65                       // 00000002EB1C: D0C90028 000283F2
	v_add_u32_e32 v242, 64, v242                               // 00000002EB24: 69E5E4C0
	s_nop 0                                                    // 00000002EB28: BF800000
	v_cndmask_b32_e64 v130, v64, v130, s[40:41]                // 00000002EB2C: D1000082 00A30540
	v_cmp_lt_u32_e64 s[40:41], v243, v65                       // 00000002EB34: D0C90028 000283F3
	v_add_u32_e32 v243, 64, v243                               // 00000002EB3C: 69E7E6C0
	s_nop 0                                                    // 00000002EB40: BF800000
	v_cndmask_b32_e64 v131, v64, v131, s[40:41]                // 00000002EB44: D1000083 00A30740
	v_cmp_lt_u32_e64 s[40:41], v240, v65                       // 00000002EB4C: D0C90028 000283F0
	v_add_u32_e32 v240, 64, v240                               // 00000002EB54: 69E1E0C0
	s_nop 0                                                    // 00000002EB58: BF800000
	v_cndmask_b32_e64 v132, v64, v132, s[40:41]                // 00000002EB5C: D1000084 00A30940
	v_cmp_lt_u32_e64 s[40:41], v241, v65                       // 00000002EB64: D0C90028 000283F1
	v_add_u32_e32 v241, 64, v241                               // 00000002EB6C: 69E3E2C0
	s_nop 0                                                    // 00000002EB70: BF800000
	v_cndmask_b32_e64 v133, v64, v133, s[40:41]                // 00000002EB74: D1000085 00A30B40
	v_cmp_lt_u32_e64 s[40:41], v242, v65                       // 00000002EB7C: D0C90028 000283F2
	v_add_u32_e32 v242, 64, v242                               // 00000002EB84: 69E5E4C0
	s_nop 0                                                    // 00000002EB88: BF800000
	v_cndmask_b32_e64 v134, v64, v134, s[40:41]                // 00000002EB8C: D1000086 00A30D40
	v_cmp_lt_u32_e64 s[40:41], v243, v65                       // 00000002EB94: D0C90028 000283F3
	v_add_u32_e32 v243, 64, v243                               // 00000002EB9C: 69E7E6C0
	s_nop 0                                                    // 00000002EBA0: BF800000
	v_cndmask_b32_e64 v135, v64, v135, s[40:41]                // 00000002EBA4: D1000087 00A30F40
	v_cmp_lt_u32_e64 s[40:41], v240, v65                       // 00000002EBAC: D0C90028 000283F0
	v_add_u32_e32 v240, 64, v240                               // 00000002EBB4: 69E1E0C0
	s_nop 0                                                    // 00000002EBB8: BF800000
	v_cndmask_b32_e64 v136, v64, v136, s[40:41]                // 00000002EBBC: D1000088 00A31140
	v_cmp_lt_u32_e64 s[40:41], v241, v65                       // 00000002EBC4: D0C90028 000283F1
	v_add_u32_e32 v241, 64, v241                               // 00000002EBCC: 69E3E2C0
	s_nop 0                                                    // 00000002EBD0: BF800000
	v_cndmask_b32_e64 v137, v64, v137, s[40:41]                // 00000002EBD4: D1000089 00A31340
	v_cmp_lt_u32_e64 s[40:41], v242, v65                       // 00000002EBDC: D0C90028 000283F2
	v_add_u32_e32 v242, 64, v242                               // 00000002EBE4: 69E5E4C0
	s_nop 0                                                    // 00000002EBE8: BF800000
	v_cndmask_b32_e64 v138, v64, v138, s[40:41]                // 00000002EBEC: D100008A 00A31540
	v_cmp_lt_u32_e64 s[40:41], v243, v65                       // 00000002EBF4: D0C90028 000283F3
	v_add_u32_e32 v243, 64, v243                               // 00000002EBFC: 69E7E6C0
	s_nop 0                                                    // 00000002EC00: BF800000
	v_cndmask_b32_e64 v139, v64, v139, s[40:41]                // 00000002EC04: D100008B 00A31740
	v_cmp_lt_u32_e64 s[40:41], v240, v65                       // 00000002EC0C: D0C90028 000283F0
	v_add_u32_e32 v240, 64, v240                               // 00000002EC14: 69E1E0C0
	s_nop 0                                                    // 00000002EC18: BF800000
	v_cndmask_b32_e64 v140, v64, v140, s[40:41]                // 00000002EC1C: D100008C 00A31940
	v_cmp_lt_u32_e64 s[40:41], v241, v65                       // 00000002EC24: D0C90028 000283F1
	v_add_u32_e32 v241, 64, v241                               // 00000002EC2C: 69E3E2C0
	s_nop 0                                                    // 00000002EC30: BF800000
	v_cndmask_b32_e64 v141, v64, v141, s[40:41]                // 00000002EC34: D100008D 00A31B40
	v_cmp_lt_u32_e64 s[40:41], v242, v65                       // 00000002EC3C: D0C90028 000283F2
	v_add_u32_e32 v242, 64, v242                               // 00000002EC44: 69E5E4C0
	s_nop 0                                                    // 00000002EC48: BF800000
	v_cndmask_b32_e64 v142, v64, v142, s[40:41]                // 00000002EC4C: D100008E 00A31D40
	v_cmp_lt_u32_e64 s[40:41], v243, v65                       // 00000002EC54: D0C90028 000283F3
	v_add_u32_e32 v243, 64, v243                               // 00000002EC5C: 69E7E6C0
	s_nop 0                                                    // 00000002EC60: BF800000
	v_cndmask_b32_e64 v143, v64, v143, s[40:41]                // 00000002EC64: D100008F 00A31F40
	v_mov_b32_e32 v48, v128                                    // 00000002EC6C: 7E600380
	v_max3_f32 v48, v128, v129, v48                            // 00000002EC70: D1D30030 04C30380
	v_max3_f32 v48, v130, v131, v48                            // 00000002EC78: D1D30030 04C30782
	v_max3_f32 v48, v132, v133, v48                            // 00000002EC80: D1D30030 04C30B84
	v_max3_f32 v48, v134, v135, v48                            // 00000002EC88: D1D30030 04C30F86
	v_max3_f32 v48, v136, v137, v48                            // 00000002EC90: D1D30030 04C31388
	v_max3_f32 v48, v138, v139, v48                            // 00000002EC98: D1D30030 04C3178A
	v_max3_f32 v48, v140, v141, v48                            // 00000002ECA0: D1D30030 04C31B8C
	v_max3_f32 v48, v142, v143, v48                            // 00000002ECA8: D1D30030 04C31F8E
	ds_write_b32 v8, v48 offset:16896                          // 00000002ECB0: D81A4200 00003008
	v_mul_f32_e32 v216, v50, v216                              // 00000002ECB8: 0BB1B132
	v_mul_f32_e32 v217, v50, v217                              // 00000002ECBC: 0BB3B332
	v_mul_f32_e32 v218, v50, v218                              // 00000002ECC0: 0BB5B532
	v_mul_f32_e32 v219, v50, v219                              // 00000002ECC4: 0BB7B732
	v_mul_f32_e32 v220, v50, v220                              // 00000002ECC8: 0BB9B932
	v_mul_f32_e32 v221, v50, v221                              // 00000002ECCC: 0BBBBB32
	v_mul_f32_e32 v222, v50, v222                              // 00000002ECD0: 0BBDBD32
	v_mul_f32_e32 v223, v50, v223                              // 00000002ECD4: 0BBFBF32
	s_waitcnt lgkmcnt(0)                                       // 00000002ECD8: BF8CC07F
	s_barrier                                                  // 00000002ECDC: BF8A0000
	ds_read_b32 v64, v7 offset:16896                           // 00000002ECE0: D86C4200 40000007
	ds_read_b32 v65, v7 offset:16960                           // 00000002ECE8: D86C4240 41000007
	ds_read_b32 v66, v7 offset:17024                           // 00000002ECF0: D86C4280 42000007
	ds_read_b32 v67, v7 offset:17088                           // 00000002ECF8: D86C42C0 43000007
	ds_read_b32 v68, v7 offset:17152                           // 00000002ED00: D86C4300 44000007
	ds_read_b32 v69, v7 offset:17216                           // 00000002ED08: D86C4340 45000007
	ds_read_b32 v70, v7 offset:17280                           // 00000002ED10: D86C4380 46000007
	ds_read_b32 v71, v7 offset:17344                           // 00000002ED18: D86C43C0 47000007
	ds_read_b32 v72, v7 offset:17408                           // 00000002ED20: D86C4400 48000007
	ds_read_b32 v73, v7 offset:17472                           // 00000002ED28: D86C4440 49000007
	ds_read_b32 v74, v7 offset:17536                           // 00000002ED30: D86C4480 4A000007
	ds_read_b32 v75, v7 offset:17600                           // 00000002ED38: D86C44C0 4B000007
	ds_read_b32 v76, v7 offset:17664                           // 00000002ED40: D86C4500 4C000007
	ds_read_b32 v77, v7 offset:17728                           // 00000002ED48: D86C4540 4D000007
	ds_read_b32 v78, v7 offset:17792                           // 00000002ED50: D86C4580 4E000007
	ds_read_b32 v79, v7 offset:17856                           // 00000002ED58: D86C45C0 4F000007
	v_cvt_f32_i32_e32 v184, v184                               // 00000002ED60: 7F700BB8
	v_cvt_f32_i32_e32 v185, v185                               // 00000002ED64: 7F720BB9
	v_cvt_f32_i32_e32 v186, v186                               // 00000002ED68: 7F740BBA
	v_cvt_f32_i32_e32 v187, v187                               // 00000002ED6C: 7F760BBB
	v_cvt_f32_i32_e32 v188, v188                               // 00000002ED70: 7F780BBC
	v_cvt_f32_i32_e32 v189, v189                               // 00000002ED74: 7F7A0BBD
	v_cvt_f32_i32_e32 v190, v190                               // 00000002ED78: 7F7C0BBE
	v_cvt_f32_i32_e32 v191, v191                               // 00000002ED7C: 7F7E0BBF
	v_mul_f32_e32 v184, v45, v184                              // 00000002ED80: 0B71712D
	v_mul_f32_e32 v185, v45, v185                              // 00000002ED84: 0B73732D
	v_mul_f32_e32 v186, v45, v186                              // 00000002ED88: 0B75752D
	v_mul_f32_e32 v187, v45, v187                              // 00000002ED8C: 0B77772D
	v_mul_f32_e32 v188, v45, v188                              // 00000002ED90: 0B79792D
	v_mul_f32_e32 v189, v45, v189                              // 00000002ED94: 0B7B7B2D
	v_mul_f32_e32 v190, v45, v190                              // 00000002ED98: 0B7D7D2D
	v_mul_f32_e32 v191, v45, v191                              // 00000002ED9C: 0B7F7F2D
	s_waitcnt lgkmcnt(0)                                       // 00000002EDA0: BF8CC07F
	v_max3_f32 v48, v64, v65, v48                              // 00000002EDA4: D1D30030 04C28340
	v_max3_f32 v48, v66, v67, v48                              // 00000002EDAC: D1D30030 04C28742
	v_max3_f32 v48, v68, v69, v48                              // 00000002EDB4: D1D30030 04C28B44
	v_max3_f32 v48, v70, v71, v48                              // 00000002EDBC: D1D30030 04C28F46
	v_max3_f32 v48, v72, v73, v48                              // 00000002EDC4: D1D30030 04C29348
	v_max3_f32 v48, v74, v75, v48                              // 00000002EDCC: D1D30030 04C2974A
	v_max3_f32 v48, v76, v77, v48                              // 00000002EDD4: D1D30030 04C29B4C
	v_max3_f32 v48, v78, v79, v48                              // 00000002EDDC: D1D30030 04C29F4E
	v_mov_b32_e32 v64, 0xff800000                              // 00000002EDE4: 7E8002FF FF800000
	v_cmp_eq_u32_e64 s[40:41], v64, v12                        // 00000002EDEC: D0CA0028 00021940
	s_nop 1                                                    // 00000002EDF4: BF800001
	v_max_f32_e32 v15, v48, v12                                // 00000002EDF8: 161E1930
	v_mul_f32_e32 v53, s64, v15                                // 00000002EDFC: 0A6A1E40
	v_fma_f32 v128, v128, s64, -v53                            // 00000002EE00: D1CB0080 84D48180
	v_fma_f32 v129, v129, s64, -v53                            // 00000002EE08: D1CB0081 84D48181
	v_fma_f32 v130, v130, s64, -v53                            // 00000002EE10: D1CB0082 84D48182
	v_fma_f32 v131, v131, s64, -v53                            // 00000002EE18: D1CB0083 84D48183
	v_fma_f32 v132, v132, s64, -v53                            // 00000002EE20: D1CB0084 84D48184
	v_fma_f32 v133, v133, s64, -v53                            // 00000002EE28: D1CB0085 84D48185
	v_fma_f32 v134, v134, s64, -v53                            // 00000002EE30: D1CB0086 84D48186
	v_fma_f32 v135, v135, s64, -v53                            // 00000002EE38: D1CB0087 84D48187
	v_fma_f32 v136, v136, s64, -v53                            // 00000002EE40: D1CB0088 84D48188
	v_fma_f32 v137, v137, s64, -v53                            // 00000002EE48: D1CB0089 84D48189
	v_fma_f32 v138, v138, s64, -v53                            // 00000002EE50: D1CB008A 84D4818A
	v_fma_f32 v139, v139, s64, -v53                            // 00000002EE58: D1CB008B 84D4818B
	v_fma_f32 v140, v140, s64, -v53                            // 00000002EE60: D1CB008C 84D4818C
	v_fma_f32 v141, v141, s64, -v53                            // 00000002EE68: D1CB008D 84D4818D
	v_fma_f32 v142, v142, s64, -v53                            // 00000002EE70: D1CB008E 84D4818E
	v_fma_f32 v143, v143, s64, -v53                            // 00000002EE78: D1CB008F 84D4818F
	v_exp_f32_e32 v128, v128                                   // 00000002EE80: 7F004180
	v_exp_f32_e32 v129, v129                                   // 00000002EE84: 7F024181
	v_exp_f32_e32 v130, v130                                   // 00000002EE88: 7F044182
	v_exp_f32_e32 v131, v131                                   // 00000002EE8C: 7F064183
	v_exp_f32_e32 v132, v132                                   // 00000002EE90: 7F084184
	v_exp_f32_e32 v133, v133                                   // 00000002EE94: 7F0A4185
	v_exp_f32_e32 v134, v134                                   // 00000002EE98: 7F0C4186
	v_exp_f32_e32 v135, v135                                   // 00000002EE9C: 7F0E4187
	v_exp_f32_e32 v136, v136                                   // 00000002EEA0: 7F104188
	v_exp_f32_e32 v137, v137                                   // 00000002EEA4: 7F124189
	v_exp_f32_e32 v138, v138                                   // 00000002EEA8: 7F14418A
	v_exp_f32_e32 v139, v139                                   // 00000002EEAC: 7F16418B
	v_exp_f32_e32 v140, v140                                   // 00000002EEB0: 7F18418C
	v_exp_f32_e32 v141, v141                                   // 00000002EEB4: 7F1A418D
	v_exp_f32_e32 v142, v142                                   // 00000002EEB8: 7F1C418E
	v_exp_f32_e32 v143, v143                                   // 00000002EEBC: 7F1E418F
	v_mul_f32_dpp v240, v252, v128 quad_perm:[0,0,0,0] row_mask:0xf bank_mask:0xf// 00000002EEC0: 0BE100FA FF0000FC
	v_mul_f32_dpp v241, v252, v129 quad_perm:[1,1,1,1] row_mask:0xf bank_mask:0xf// 00000002EEC8: 0BE302FA FF0055FC
	v_mul_f32_dpp v242, v252, v130 quad_perm:[2,2,2,2] row_mask:0xf bank_mask:0xf// 00000002EED0: 0BE504FA FF00AAFC
	v_mul_f32_dpp v243, v252, v131 quad_perm:[3,3,3,3] row_mask:0xf bank_mask:0xf// 00000002EED8: 0BE706FA FF00FFFC
	v_mul_f32_dpp v244, v253, v132 quad_perm:[0,0,0,0] row_mask:0xf bank_mask:0xf// 00000002EEE0: 0BE908FA FF0000FD
	v_mul_f32_dpp v245, v253, v133 quad_perm:[1,1,1,1] row_mask:0xf bank_mask:0xf// 00000002EEE8: 0BEB0AFA FF0055FD
	v_mul_f32_dpp v246, v253, v134 quad_perm:[2,2,2,2] row_mask:0xf bank_mask:0xf// 00000002EEF0: 0BED0CFA FF00AAFD
	v_mul_f32_dpp v247, v253, v135 quad_perm:[3,3,3,3] row_mask:0xf bank_mask:0xf// 00000002EEF8: 0BEF0EFA FF00FFFD
	v_mul_f32_dpp v248, v254, v136 quad_perm:[0,0,0,0] row_mask:0xf bank_mask:0xf// 00000002EF00: 0BF110FA FF0000FE
	v_mul_f32_dpp v249, v254, v137 quad_perm:[1,1,1,1] row_mask:0xf bank_mask:0xf// 00000002EF08: 0BF312FA FF0055FE
	v_mul_f32_dpp v250, v254, v138 quad_perm:[2,2,2,2] row_mask:0xf bank_mask:0xf// 00000002EF10: 0BF514FA FF00AAFE
	v_mul_f32_dpp v251, v254, v139 quad_perm:[3,3,3,3] row_mask:0xf bank_mask:0xf// 00000002EF18: 0BF716FA FF00FFFE
	v_mul_f32_dpp v252, v255, v140 quad_perm:[0,0,0,0] row_mask:0xf bank_mask:0xf// 00000002EF20: 0BF918FA FF0000FF
	v_mul_f32_dpp v253, v255, v141 quad_perm:[1,1,1,1] row_mask:0xf bank_mask:0xf// 00000002EF28: 0BFB1AFA FF0055FF
	v_mul_f32_dpp v254, v255, v142 quad_perm:[2,2,2,2] row_mask:0xf bank_mask:0xf// 00000002EF30: 0BFD1CFA FF00AAFF
	v_mul_f32_dpp v255, v255, v143 quad_perm:[3,3,3,3] row_mask:0xf bank_mask:0xf// 00000002EF38: 0BFF1EFA FF00FFFF
	v_mov_b32_e32 v48, 0x358637bd                              // 00000002EF40: 7E6002FF 358637BD
	v_max3_f32 v48, |v240|, |v241|, v48                        // 00000002EF48: D1D30330 04C3E3F0
	v_max3_f32 v48, |v242|, |v243|, v48                        // 00000002EF50: D1D30330 04C3E7F2
	v_max3_f32 v48, |v244|, |v245|, v48                        // 00000002EF58: D1D30330 04C3EBF4
	v_max3_f32 v48, |v246|, |v247|, v48                        // 00000002EF60: D1D30330 04C3EFF6
	v_max3_f32 v48, |v248|, |v249|, v48                        // 00000002EF68: D1D30330 04C3F3F8
	v_max3_f32 v48, |v250|, |v251|, v48                        // 00000002EF70: D1D30330 04C3F7FA
	v_max3_f32 v48, |v252|, |v253|, v48                        // 00000002EF78: D1D30330 04C3FBFC
	v_max3_f32 v48, |v254|, |v255|, v48                        // 00000002EF80: D1D30330 04C3FFFE
	ds_write_b32 v8, v48 offset:20992                          // 00000002EF88: D81A5200 00003008
	v_sub_f32_e32 v50, v12, v15                                // 00000002EF90: 04641F0C
	v_cndmask_b32_e64 v50, v50, 0, s[40:41]                    // 00000002EF94: D1000032 00A10132
	v_mov_b32_e32 v12, v15                                     // 00000002EF9C: 7E18030F
	v_mul_f32_e32 v50, s64, v50                                // 00000002EFA0: 0A646440
	v_exp_f32_e32 v50, v50                                     // 00000002EFA4: 7E644132
	s_waitcnt lgkmcnt(0)                                       // 00000002EFA8: BF8CC07F
	s_barrier                                                  // 00000002EFAC: BF8A0000
	ds_read_b32 v64, v7 offset:20992                           // 00000002EFB0: D86C5200 40000007
	ds_read_b32 v65, v7 offset:21056                           // 00000002EFB8: D86C5240 41000007
	ds_read_b32 v66, v7 offset:21120                           // 00000002EFC0: D86C5280 42000007
	ds_read_b32 v67, v7 offset:21184                           // 00000002EFC8: D86C52C0 43000007
	ds_read_b32 v68, v7 offset:21248                           // 00000002EFD0: D86C5300 44000007
	ds_read_b32 v69, v7 offset:21312                           // 00000002EFD8: D86C5340 45000007
	ds_read_b32 v70, v7 offset:21376                           // 00000002EFE0: D86C5380 46000007
	ds_read_b32 v71, v7 offset:21440                           // 00000002EFE8: D86C53C0 47000007
	ds_read_b32 v72, v7 offset:21504                           // 00000002EFF0: D86C5400 48000007
	ds_read_b32 v73, v7 offset:21568                           // 00000002EFF8: D86C5440 49000007
	ds_read_b32 v74, v7 offset:21632                           // 00000002F000: D86C5480 4A000007
	ds_read_b32 v75, v7 offset:21696                           // 00000002F008: D86C54C0 4B000007
	ds_read_b32 v76, v7 offset:21760                           // 00000002F010: D86C5500 4C000007
	ds_read_b32 v77, v7 offset:21824                           // 00000002F018: D86C5540 4D000007
	ds_read_b32 v78, v7 offset:21888                           // 00000002F020: D86C5580 4E000007
	ds_read_b32 v79, v7 offset:21952                           // 00000002F028: D86C55C0 4F000007
	v_mul_f32_e32 v39, v50, v39                                // 00000002F030: 0A4E4F32
	v_mov_b32_e32 v15, v128                                    // 00000002F034: 7E1E0380
	v_add_f32_e32 v15, v129, v15                               // 00000002F038: 021E1F81
	v_add_f32_e32 v15, v130, v15                               // 00000002F03C: 021E1F82
	v_add_f32_e32 v15, v131, v15                               // 00000002F040: 021E1F83
	v_add_f32_e32 v15, v132, v15                               // 00000002F044: 021E1F84
	v_add_f32_e32 v15, v133, v15                               // 00000002F048: 021E1F85
	v_add_f32_e32 v15, v134, v15                               // 00000002F04C: 021E1F86
	v_add_f32_e32 v15, v135, v15                               // 00000002F050: 021E1F87
	v_add_f32_e32 v15, v136, v15                               // 00000002F054: 021E1F88
	v_add_f32_e32 v15, v137, v15                               // 00000002F058: 021E1F89
	v_add_f32_e32 v15, v138, v15                               // 00000002F05C: 021E1F8A
	v_add_f32_e32 v15, v139, v15                               // 00000002F060: 021E1F8B
	v_add_f32_e32 v15, v140, v15                               // 00000002F064: 021E1F8C
	v_add_f32_e32 v15, v141, v15                               // 00000002F068: 021E1F8D
	v_add_f32_e32 v15, v142, v15                               // 00000002F06C: 021E1F8E
	v_add_f32_e32 v15, v143, v15                               // 00000002F070: 021E1F8F
	v_add_f32_e32 v39, v15, v39                                // 00000002F074: 024E4F0F
	s_waitcnt lgkmcnt(0)                                       // 00000002F078: BF8CC07F
	v_max3_f32 v48, |v64|, |v65|, v48                          // 00000002F07C: D1D30330 04C28340
	v_max3_f32 v48, |v66|, |v67|, v48                          // 00000002F084: D1D30330 04C28742
	v_max3_f32 v48, |v68|, |v69|, v48                          // 00000002F08C: D1D30330 04C28B44
	v_max3_f32 v48, |v70|, |v71|, v48                          // 00000002F094: D1D30330 04C28F46
	v_max3_f32 v48, |v72|, |v73|, v48                          // 00000002F09C: D1D30330 04C29348
	v_max3_f32 v48, |v74|, |v75|, v48                          // 00000002F0A4: D1D30330 04C2974A
	v_max3_f32 v48, |v76|, |v77|, v48                          // 00000002F0AC: D1D30330 04C29B4C
	v_max3_f32 v48, |v78|, |v79|, v48                          // 00000002F0B4: D1D30330 04C29F4E
	s_nop 2                                                    // 00000002F0BC: BF800002
	v_rcp_f32_e32 v48, v48                                     // 00000002F0C0: 7E604530
	s_nop 1                                                    // 00000002F0C4: BF800001
	v_mul_f32_e32 v48, 0x42fe0000, v48                         // 00000002F0C8: 0A6060FF 42FE0000
	v_mul_f32_e32 v128, v48, v240                              // 00000002F0D0: 0B01E130
	v_mul_f32_e32 v129, v48, v241                              // 00000002F0D4: 0B03E330
	v_mul_f32_e32 v130, v48, v242                              // 00000002F0D8: 0B05E530
	v_mul_f32_e32 v131, v48, v243                              // 00000002F0DC: 0B07E730
	v_mul_f32_e32 v132, v48, v244                              // 00000002F0E0: 0B09E930
	v_mul_f32_e32 v133, v48, v245                              // 00000002F0E4: 0B0BEB30
	v_mul_f32_e32 v134, v48, v246                              // 00000002F0E8: 0B0DED30
	v_mul_f32_e32 v135, v48, v247                              // 00000002F0EC: 0B0FEF30
	v_mul_f32_e32 v136, v48, v248                              // 00000002F0F0: 0B11F130
	v_mul_f32_e32 v137, v48, v249                              // 00000002F0F4: 0B13F330
	v_mul_f32_e32 v138, v48, v250                              // 00000002F0F8: 0B15F530
	v_mul_f32_e32 v139, v48, v251                              // 00000002F0FC: 0B17F730
	v_mul_f32_e32 v140, v48, v252                              // 00000002F100: 0B19F930
	v_mul_f32_e32 v141, v48, v253                              // 00000002F104: 0B1BFB30
	v_mul_f32_e32 v142, v48, v254                              // 00000002F108: 0B1DFD30
	v_mul_f32_e32 v143, v48, v255                              // 00000002F10C: 0B1FFF30
	v_cvt_i32_f32_e32 v128, v128                               // 00000002F110: 7F001180
	v_cvt_i32_f32_e32 v129, v129                               // 00000002F114: 7F021181
	v_cvt_i32_f32_e32 v130, v130                               // 00000002F118: 7F041182
	v_cvt_i32_f32_e32 v131, v131                               // 00000002F11C: 7F061183
	v_cvt_i32_f32_e32 v132, v132                               // 00000002F120: 7F081184
	v_cvt_i32_f32_e32 v133, v133                               // 00000002F124: 7F0A1185
	v_cvt_i32_f32_e32 v134, v134                               // 00000002F128: 7F0C1186
	v_cvt_i32_f32_e32 v135, v135                               // 00000002F12C: 7F0E1187
	v_cvt_i32_f32_e32 v136, v136                               // 00000002F130: 7F101188
	v_cvt_i32_f32_e32 v137, v137                               // 00000002F134: 7F121189
	v_cvt_i32_f32_e32 v138, v138                               // 00000002F138: 7F14118A
	v_cvt_i32_f32_e32 v139, v139                               // 00000002F13C: 7F16118B
	v_cvt_i32_f32_e32 v140, v140                               // 00000002F140: 7F18118C
	v_cvt_i32_f32_e32 v141, v141                               // 00000002F144: 7F1A118D
	v_cvt_i32_f32_e32 v142, v142                               // 00000002F148: 7F1C118E
	v_cvt_i32_f32_e32 v143, v143                               // 00000002F14C: 7F1E118F
	v_perm_b32 v128, v129, v128, s53                           // 00000002F150: D1ED0080 00D70181
	v_perm_b32 v128, v130, v128, s54                           // 00000002F158: D1ED0080 00DB0182
	v_perm_b32 v128, v131, v128, s55                           // 00000002F160: D1ED0080 00DF0183
	v_perm_b32 v129, v133, v132, s53                           // 00000002F168: D1ED0081 00D70985
	v_perm_b32 v129, v134, v129, s54                           // 00000002F170: D1ED0081 00DB0386
	v_perm_b32 v129, v135, v129, s55                           // 00000002F178: D1ED0081 00DF0387
	v_perm_b32 v130, v137, v136, s53                           // 00000002F180: D1ED0082 00D71189
	v_perm_b32 v130, v138, v130, s54                           // 00000002F188: D1ED0082 00DB058A
	v_perm_b32 v130, v139, v130, s55                           // 00000002F190: D1ED0082 00DF058B
	v_perm_b32 v131, v141, v140, s53                           // 00000002F198: D1ED0083 00D7198D
	v_perm_b32 v131, v142, v131, s54                           // 00000002F1A0: D1ED0083 00DB078E
	v_perm_b32 v131, v143, v131, s55                           // 00000002F1A8: D1ED0083 00DF078F
	ds_write_b32 v10, v128 offset:29184                        // 00000002F1B0: D81A7200 0000800A
	ds_write_b32 v10, v129 offset:30208                        // 00000002F1B8: D81A7600 0000810A
	ds_write_b32 v10, v130 offset:31232                        // 00000002F1C0: D81A7A00 0000820A
	ds_write_b32 v10, v131 offset:32256                        // 00000002F1C8: D81A7E00 0000830A
	v_add_f32_e32 v216, v216, v184                             // 00000002F1D0: 03B171D8
	v_add_f32_e32 v217, v217, v185                             // 00000002F1D4: 03B373D9
	v_add_f32_e32 v218, v218, v186                             // 00000002F1D8: 03B575DA
	v_add_f32_e32 v219, v219, v187                             // 00000002F1DC: 03B777DB
	v_add_f32_e32 v220, v220, v188                             // 00000002F1E0: 03B979DC
	v_add_f32_e32 v221, v221, v189                             // 00000002F1E4: 03BB7BDD
	v_add_f32_e32 v222, v222, v190                             // 00000002F1E8: 03BD7DDE
	v_add_f32_e32 v223, v223, v191                             // 00000002F1EC: 03BF7FDF
	v_rcp_f32_e32 v45, v48                                     // 00000002F1F0: 7E5A4530
	s_waitcnt lgkmcnt(0)                                       // 00000002F1F4: BF8CC07F
	s_barrier                                                  // 00000002F1F8: BF8A0000
	ds_read_b64 v[128:129], v9 offset:29184                    // 00000002F1FC: D8EC7200 80000009
	ds_read_b64 v[130:131], v9 offset:29312                    // 00000002F204: D8EC7280 82000009
	ds_read_b64 v[132:133], v9 offset:30208                    // 00000002F20C: D8EC7600 84000009
	ds_read_b64 v[134:135], v9 offset:30336                    // 00000002F214: D8EC7680 86000009
	ds_read_b64 v[136:137], v9 offset:31232                    // 00000002F21C: D8EC7A00 88000009
	ds_read_b64 v[138:139], v9 offset:31360                    // 00000002F224: D8EC7A80 8A000009
	ds_read_b64 v[140:141], v9 offset:32256                    // 00000002F22C: D8EC7E00 8C000009
	ds_read_b64 v[142:143], v9 offset:32384                    // 00000002F234: D8EC7E80 8E000009
	v_mov_b32_dpp v64, v43 row_shr:4 row_mask:0xf bank_mask:0xf// 00000002F23C: 7E8002FA FF01142B
	v_mov_b32_dpp v65, v43 row_shl:4 row_mask:0xf bank_mask:0xf// 00000002F244: 7E8202FA FF01042B
	v_cndmask_b32_e64 v248, v43, v64, s[44:45]                 // 00000002F24C: D10000F8 00B2812B
	v_cndmask_b32_e64 v249, v65, v43, s[44:45]                 // 00000002F254: D10000F9 00B25741
	v_mov_b32_dpp v64, v248 row_shr:8 row_mask:0xf bank_mask:0xf// 00000002F25C: 7E8002FA FF0118F8
	v_mov_b32_dpp v65, v248 row_shl:8 row_mask:0xf bank_mask:0xf// 00000002F264: 7E8202FA FF0108F8
	v_mov_b32_dpp v66, v249 row_shr:8 row_mask:0xf bank_mask:0xf// 00000002F26C: 7E8402FA FF0118F9
	v_mov_b32_dpp v67, v249 row_shl:8 row_mask:0xf bank_mask:0xf// 00000002F274: 7E8602FA FF0108F9
	v_mov_b32_e32 v68, v248                                    // 00000002F27C: 7E8803F8
	v_mov_b32_e32 v69, v249                                    // 00000002F280: 7E8A03F9
	v_cndmask_b32_e64 v248, v68, v64, s[42:43]                 // 00000002F284: D10000F8 00AA8144
	v_cndmask_b32_e64 v250, v68, v65, s[78:79]                 // 00000002F28C: D10000FA 013A8344
	v_cndmask_b32_e64 v249, v69, v66, s[42:43]                 // 00000002F294: D10000F9 00AA8545
	v_cndmask_b32_e64 v251, v69, v67, s[78:79]                 // 00000002F29C: D10000FB 013A8745
	v_mov_b32_dpp v64, v58 row_shr:4 row_mask:0xf bank_mask:0xf// 00000002F2A4: 7E8002FA FF01143A
	v_mov_b32_dpp v65, v58 row_shl:4 row_mask:0xf bank_mask:0xf// 00000002F2AC: 7E8202FA FF01043A
	v_cndmask_b32_e64 v252, v58, v64, s[44:45]                 // 00000002F2B4: D10000FC 00B2813A
	v_cndmask_b32_e64 v253, v65, v58, s[44:45]                 // 00000002F2BC: D10000FD 00B27541
	v_mov_b32_dpp v64, v252 row_shr:8 row_mask:0xf bank_mask:0xf// 00000002F2C4: 7E8002FA FF0118FC
	v_mov_b32_dpp v65, v252 row_shl:8 row_mask:0xf bank_mask:0xf// 00000002F2CC: 7E8202FA FF0108FC
	v_mov_b32_dpp v66, v253 row_shr:8 row_mask:0xf bank_mask:0xf// 00000002F2D4: 7E8402FA FF0118FD
	v_mov_b32_dpp v67, v253 row_shl:8 row_mask:0xf bank_mask:0xf// 00000002F2DC: 7E8602FA FF0108FD
	v_mov_b32_e32 v68, v252                                    // 00000002F2E4: 7E8803FC
	v_mov_b32_e32 v69, v253                                    // 00000002F2E8: 7E8A03FD
	v_cndmask_b32_e64 v252, v68, v64, s[42:43]                 // 00000002F2EC: D10000FC 00AA8144
	v_cndmask_b32_e64 v254, v68, v65, s[78:79]                 // 00000002F2F4: D10000FE 013A8344
	v_cndmask_b32_e64 v253, v69, v66, s[42:43]                 // 00000002F2FC: D10000FD 00AA8545
	v_cndmask_b32_e64 v255, v69, v67, s[78:79]                 // 00000002F304: D10000FF 013A8745
	v_cvt_f32_i32_e32 v144, v144                               // 00000002F30C: 7F200B90
	v_cvt_f32_i32_e32 v145, v145                               // 00000002F310: 7F220B91
	v_cvt_f32_i32_e32 v146, v146                               // 00000002F314: 7F240B92
	v_cvt_f32_i32_e32 v147, v147                               // 00000002F318: 7F260B93
	v_cvt_f32_i32_e32 v148, v148                               // 00000002F31C: 7F280B94
	v_cvt_f32_i32_e32 v149, v149                               // 00000002F320: 7F2A0B95
	v_cvt_f32_i32_e32 v150, v150                               // 00000002F324: 7F2C0B96
	v_cvt_f32_i32_e32 v151, v151                               // 00000002F328: 7F2E0B97
	v_cvt_f32_i32_e32 v152, v152                               // 00000002F32C: 7F300B98
	v_cvt_f32_i32_e32 v153, v153                               // 00000002F330: 7F320B99
	v_cvt_f32_i32_e32 v154, v154                               // 00000002F334: 7F340B9A
	v_cvt_f32_i32_e32 v155, v155                               // 00000002F338: 7F360B9B
	v_cvt_f32_i32_e32 v156, v156                               // 00000002F33C: 7F380B9C
	v_cvt_f32_i32_e32 v157, v157                               // 00000002F340: 7F3A0B9D
	v_cvt_f32_i32_e32 v158, v158                               // 00000002F344: 7F3C0B9E
	v_cvt_f32_i32_e32 v159, v159                               // 00000002F348: 7F3E0B9F
	v_mul_f32_e32 v144, v20, v144                              // 00000002F34C: 0B212114
	v_mul_f32_e32 v145, v20, v145                              // 00000002F350: 0B232314
	v_mul_f32_e32 v146, v20, v146                              // 00000002F354: 0B252514
	v_mul_f32_e32 v147, v20, v147                              // 00000002F358: 0B272714
	v_mul_f32_e32 v148, v20, v148                              // 00000002F35C: 0B292914
	v_mul_f32_e32 v149, v20, v149                              // 00000002F360: 0B2B2B14
	v_mul_f32_e32 v150, v20, v150                              // 00000002F364: 0B2D2D14
	v_mul_f32_e32 v151, v20, v151                              // 00000002F368: 0B2F2F14
	v_mul_f32_e32 v152, v20, v152                              // 00000002F36C: 0B313114
	v_mul_f32_e32 v153, v20, v153                              // 00000002F370: 0B333314
	v_mul_f32_e32 v154, v20, v154                              // 00000002F374: 0B353514
	v_mul_f32_e32 v155, v20, v155                              // 00000002F378: 0B373714
	v_mul_f32_e32 v156, v20, v156                              // 00000002F37C: 0B393914
	v_mul_f32_e32 v157, v20, v157                              // 00000002F380: 0B3B3B14
	v_mul_f32_e32 v158, v20, v158                              // 00000002F384: 0B3D3D14
	v_mul_f32_e32 v159, v20, v159                              // 00000002F388: 0B3F3F14
	v_mul_f32_dpp v144, v248, v144 quad_perm:[0,0,0,0] row_mask:0xf bank_mask:0xf// 00000002F38C: 0B2120FA FF0000F8
	v_mul_f32_dpp v145, v248, v145 quad_perm:[1,1,1,1] row_mask:0xf bank_mask:0xf// 00000002F394: 0B2322FA FF0055F8
	v_mul_f32_dpp v146, v248, v146 quad_perm:[2,2,2,2] row_mask:0xf bank_mask:0xf// 00000002F39C: 0B2524FA FF00AAF8
	v_mul_f32_dpp v147, v248, v147 quad_perm:[3,3,3,3] row_mask:0xf bank_mask:0xf// 00000002F3A4: 0B2726FA FF00FFF8
	v_mul_f32_dpp v148, v249, v148 quad_perm:[0,0,0,0] row_mask:0xf bank_mask:0xf// 00000002F3AC: 0B2928FA FF0000F9
	v_mul_f32_dpp v149, v249, v149 quad_perm:[1,1,1,1] row_mask:0xf bank_mask:0xf// 00000002F3B4: 0B2B2AFA FF0055F9
	v_mul_f32_dpp v150, v249, v150 quad_perm:[2,2,2,2] row_mask:0xf bank_mask:0xf// 00000002F3BC: 0B2D2CFA FF00AAF9
	v_mul_f32_dpp v151, v249, v151 quad_perm:[3,3,3,3] row_mask:0xf bank_mask:0xf// 00000002F3C4: 0B2F2EFA FF00FFF9
	v_mul_f32_dpp v152, v250, v152 quad_perm:[0,0,0,0] row_mask:0xf bank_mask:0xf// 00000002F3CC: 0B3130FA FF0000FA
	v_mul_f32_dpp v153, v250, v153 quad_perm:[1,1,1,1] row_mask:0xf bank_mask:0xf// 00000002F3D4: 0B3332FA FF0055FA
	v_mul_f32_dpp v154, v250, v154 quad_perm:[2,2,2,2] row_mask:0xf bank_mask:0xf// 00000002F3DC: 0B3534FA FF00AAFA
	v_mul_f32_dpp v155, v250, v155 quad_perm:[3,3,3,3] row_mask:0xf bank_mask:0xf// 00000002F3E4: 0B3736FA FF00FFFA
	v_mul_f32_dpp v156, v251, v156 quad_perm:[0,0,0,0] row_mask:0xf bank_mask:0xf// 00000002F3EC: 0B3938FA FF0000FB
	v_mul_f32_dpp v157, v251, v157 quad_perm:[1,1,1,1] row_mask:0xf bank_mask:0xf// 00000002F3F4: 0B3B3AFA FF0055FB
	v_mul_f32_dpp v158, v251, v158 quad_perm:[2,2,2,2] row_mask:0xf bank_mask:0xf// 00000002F3FC: 0B3D3CFA FF00AAFB
	v_mul_f32_dpp v159, v251, v159 quad_perm:[3,3,3,3] row_mask:0xf bank_mask:0xf// 00000002F404: 0B3F3EFA FF00FFFB
	s_cmp_le_i32 s90, s89                                      // 00000002F40C: BF05595A
	s_cbranch_scc1 label_B4F6                                  // 00000002F410: BF850071
	v_mov_b32_e32 v66, 0xff800000                              // 00000002F414: 7E8402FF FF800000
	s_mov_b32 s60, s90                                         // 00000002F41C: BEBC005A
	s_add_u32 s61, s89, 0xff                                   // 00000002F420: 803DFF59 000000FF
	v_mov_b32_e32 v64, s61                                     // 00000002F428: 7E80023D
	v_lshrrev_b32_e32 v240, 4, v0                              // 00000002F42C: 21E00084
	v_mul_i32_i24_e32 v240, 4, v240                            // 00000002F430: 0DE1E084
	v_add_u32_e32 v240, s60, v240                              // 00000002F434: 69E1E03C
	s_mov_b32 s61, 2                                           // 00000002F438: BEBD0082
	s_mul_i32 s60, 16, s7                                      // 00000002F43C: 923C0790
	v_sub_u32_e64 v240, v240, s61                              // 00000002F440: D13500F0 00007BF0
	v_add_u32_e32 v240, s60, v240                              // 00000002F448: 69E1E03C
	v_add_u32_e32 v241, 1, v240                                // 00000002F44C: 69E3E081
	v_add_u32_e32 v242, 2, v240                                // 00000002F450: 69E5E082
	v_add_u32_e32 v243, 3, v240                                // 00000002F454: 69E7E083
	v_cmp_le_u32_e64 s[40:41], v240, v64                       // 00000002F458: D0CB0028 000281F0
	v_add_u32_e32 v240, 64, v240                               // 00000002F460: 69E1E0C0
	s_nop 0                                                    // 00000002F464: BF800000
	v_cndmask_b32_e64 v144, v66, v144, s[40:41]                // 00000002F468: D1000090 00A32142
	v_cmp_le_u32_e64 s[40:41], v241, v64                       // 00000002F470: D0CB0028 000281F1
	v_add_u32_e32 v241, 64, v241                               // 00000002F478: 69E3E2C0
	s_nop 0                                                    // 00000002F47C: BF800000
	v_cndmask_b32_e64 v145, v66, v145, s[40:41]                // 00000002F480: D1000091 00A32342
	v_cmp_le_u32_e64 s[40:41], v242, v64                       // 00000002F488: D0CB0028 000281F2
	v_add_u32_e32 v242, 64, v242                               // 00000002F490: 69E5E4C0
	s_nop 0                                                    // 00000002F494: BF800000
	v_cndmask_b32_e64 v146, v66, v146, s[40:41]                // 00000002F498: D1000092 00A32542
	v_cmp_le_u32_e64 s[40:41], v243, v64                       // 00000002F4A0: D0CB0028 000281F3
	v_add_u32_e32 v243, 64, v243                               // 00000002F4A8: 69E7E6C0
	s_nop 0                                                    // 00000002F4AC: BF800000
	v_cndmask_b32_e64 v147, v66, v147, s[40:41]                // 00000002F4B0: D1000093 00A32742
	v_cmp_le_u32_e64 s[40:41], v240, v64                       // 00000002F4B8: D0CB0028 000281F0
	v_add_u32_e32 v240, 64, v240                               // 00000002F4C0: 69E1E0C0
	s_nop 0                                                    // 00000002F4C4: BF800000
	v_cndmask_b32_e64 v148, v66, v148, s[40:41]                // 00000002F4C8: D1000094 00A32942
	v_cmp_le_u32_e64 s[40:41], v241, v64                       // 00000002F4D0: D0CB0028 000281F1
	v_add_u32_e32 v241, 64, v241                               // 00000002F4D8: 69E3E2C0
	s_nop 0                                                    // 00000002F4DC: BF800000
	v_cndmask_b32_e64 v149, v66, v149, s[40:41]                // 00000002F4E0: D1000095 00A32B42
	v_cmp_le_u32_e64 s[40:41], v242, v64                       // 00000002F4E8: D0CB0028 000281F2
	v_add_u32_e32 v242, 64, v242                               // 00000002F4F0: 69E5E4C0
	s_nop 0                                                    // 00000002F4F4: BF800000
	v_cndmask_b32_e64 v150, v66, v150, s[40:41]                // 00000002F4F8: D1000096 00A32D42
	v_cmp_le_u32_e64 s[40:41], v243, v64                       // 00000002F500: D0CB0028 000281F3
	v_add_u32_e32 v243, 64, v243                               // 00000002F508: 69E7E6C0
	s_nop 0                                                    // 00000002F50C: BF800000
	v_cndmask_b32_e64 v151, v66, v151, s[40:41]                // 00000002F510: D1000097 00A32F42
	v_cmp_le_u32_e64 s[40:41], v240, v64                       // 00000002F518: D0CB0028 000281F0
	v_add_u32_e32 v240, 64, v240                               // 00000002F520: 69E1E0C0
	s_nop 0                                                    // 00000002F524: BF800000
	v_cndmask_b32_e64 v152, v66, v152, s[40:41]                // 00000002F528: D1000098 00A33142
	v_cmp_le_u32_e64 s[40:41], v241, v64                       // 00000002F530: D0CB0028 000281F1
	v_add_u32_e32 v241, 64, v241                               // 00000002F538: 69E3E2C0
	s_nop 0                                                    // 00000002F53C: BF800000
	v_cndmask_b32_e64 v153, v66, v153, s[40:41]                // 00000002F540: D1000099 00A33342
	v_cmp_le_u32_e64 s[40:41], v242, v64                       // 00000002F548: D0CB0028 000281F2
	v_add_u32_e32 v242, 64, v242                               // 00000002F550: 69E5E4C0
	s_nop 0                                                    // 00000002F554: BF800000
	v_cndmask_b32_e64 v154, v66, v154, s[40:41]                // 00000002F558: D100009A 00A33542
	v_cmp_le_u32_e64 s[40:41], v243, v64                       // 00000002F560: D0CB0028 000281F3
	v_add_u32_e32 v243, 64, v243                               // 00000002F568: 69E7E6C0
	s_nop 0                                                    // 00000002F56C: BF800000
	v_cndmask_b32_e64 v155, v66, v155, s[40:41]                // 00000002F570: D100009B 00A33742
	v_cmp_le_u32_e64 s[40:41], v240, v64                       // 00000002F578: D0CB0028 000281F0
	v_add_u32_e32 v240, 64, v240                               // 00000002F580: 69E1E0C0
	s_nop 0                                                    // 00000002F584: BF800000
	v_cndmask_b32_e64 v156, v66, v156, s[40:41]                // 00000002F588: D100009C 00A33942
	v_cmp_le_u32_e64 s[40:41], v241, v64                       // 00000002F590: D0CB0028 000281F1
	v_add_u32_e32 v241, 64, v241                               // 00000002F598: 69E3E2C0
	s_nop 0                                                    // 00000002F59C: BF800000
	v_cndmask_b32_e64 v157, v66, v157, s[40:41]                // 00000002F5A0: D100009D 00A33B42
	v_cmp_le_u32_e64 s[40:41], v242, v64                       // 00000002F5A8: D0CB0028 000281F2
	v_add_u32_e32 v242, 64, v242                               // 00000002F5B0: 69E5E4C0
	s_nop 0                                                    // 00000002F5B4: BF800000
	v_cndmask_b32_e64 v158, v66, v158, s[40:41]                // 00000002F5B8: D100009E 00A33D42
	v_cmp_le_u32_e64 s[40:41], v243, v64                       // 00000002F5C0: D0CB0028 000281F3
	v_add_u32_e32 v243, 64, v243                               // 00000002F5C8: 69E7E6C0
	s_nop 0                                                    // 00000002F5CC: BF800000
	v_cndmask_b32_e64 v159, v66, v159, s[40:41]                // 00000002F5D0: D100009F 00A33F42

000000000002f5d8 <label_B4F6>:
	s_and_b32 s60, s72, 0xff                                   // 00000002F5D8: 863CFF48 000000FF
	v_mov_b32_e32 v65, s60                                     // 00000002F5E0: 7E82023C
	v_lshrrev_b32_e32 v240, 4, v0                              // 00000002F5E4: 21E00084
	v_mul_i32_i24_e32 v240, 4, v240                            // 00000002F5E8: 0DE1E084
	s_mul_i32 s60, s7, 16                                      // 00000002F5EC: 923C9007
	v_add_u32_e32 v240, s60, v240                              // 00000002F5F0: 69E1E03C
	v_add_u32_e32 v241, 1, v240                                // 00000002F5F4: 69E3E081
	v_add_u32_e32 v242, 2, v240                                // 00000002F5F8: 69E5E082
	v_add_u32_e32 v243, 3, v240                                // 00000002F5FC: 69E7E083
	v_mov_b32_e32 v64, 0xff800000                              // 00000002F600: 7E8002FF FF800000
	v_cmp_lt_u32_e64 s[40:41], v240, v65                       // 00000002F608: D0C90028 000283F0
	v_add_u32_e32 v240, 64, v240                               // 00000002F610: 69E1E0C0
	s_nop 0                                                    // 00000002F614: BF800000
	v_cndmask_b32_e64 v144, v64, v144, s[40:41]                // 00000002F618: D1000090 00A32140
	v_cmp_lt_u32_e64 s[40:41], v241, v65                       // 00000002F620: D0C90028 000283F1
	v_add_u32_e32 v241, 64, v241                               // 00000002F628: 69E3E2C0
	s_nop 0                                                    // 00000002F62C: BF800000
	v_cndmask_b32_e64 v145, v64, v145, s[40:41]                // 00000002F630: D1000091 00A32340
	v_cmp_lt_u32_e64 s[40:41], v242, v65                       // 00000002F638: D0C90028 000283F2
	v_add_u32_e32 v242, 64, v242                               // 00000002F640: 69E5E4C0
	s_nop 0                                                    // 00000002F644: BF800000
	v_cndmask_b32_e64 v146, v64, v146, s[40:41]                // 00000002F648: D1000092 00A32540
	v_cmp_lt_u32_e64 s[40:41], v243, v65                       // 00000002F650: D0C90028 000283F3
	v_add_u32_e32 v243, 64, v243                               // 00000002F658: 69E7E6C0
	s_nop 0                                                    // 00000002F65C: BF800000
	v_cndmask_b32_e64 v147, v64, v147, s[40:41]                // 00000002F660: D1000093 00A32740
	v_cmp_lt_u32_e64 s[40:41], v240, v65                       // 00000002F668: D0C90028 000283F0
	v_add_u32_e32 v240, 64, v240                               // 00000002F670: 69E1E0C0
	s_nop 0                                                    // 00000002F674: BF800000
	v_cndmask_b32_e64 v148, v64, v148, s[40:41]                // 00000002F678: D1000094 00A32940
	v_cmp_lt_u32_e64 s[40:41], v241, v65                       // 00000002F680: D0C90028 000283F1
	v_add_u32_e32 v241, 64, v241                               // 00000002F688: 69E3E2C0
	s_nop 0                                                    // 00000002F68C: BF800000
	v_cndmask_b32_e64 v149, v64, v149, s[40:41]                // 00000002F690: D1000095 00A32B40
	v_cmp_lt_u32_e64 s[40:41], v242, v65                       // 00000002F698: D0C90028 000283F2
	v_add_u32_e32 v242, 64, v242                               // 00000002F6A0: 69E5E4C0
	s_nop 0                                                    // 00000002F6A4: BF800000
	v_cndmask_b32_e64 v150, v64, v150, s[40:41]                // 00000002F6A8: D1000096 00A32D40
	v_cmp_lt_u32_e64 s[40:41], v243, v65                       // 00000002F6B0: D0C90028 000283F3
	v_add_u32_e32 v243, 64, v243                               // 00000002F6B8: 69E7E6C0
	s_nop 0                                                    // 00000002F6BC: BF800000
	v_cndmask_b32_e64 v151, v64, v151, s[40:41]                // 00000002F6C0: D1000097 00A32F40
	v_cmp_lt_u32_e64 s[40:41], v240, v65                       // 00000002F6C8: D0C90028 000283F0
	v_add_u32_e32 v240, 64, v240                               // 00000002F6D0: 69E1E0C0
	s_nop 0                                                    // 00000002F6D4: BF800000
	v_cndmask_b32_e64 v152, v64, v152, s[40:41]                // 00000002F6D8: D1000098 00A33140
	v_cmp_lt_u32_e64 s[40:41], v241, v65                       // 00000002F6E0: D0C90028 000283F1
	v_add_u32_e32 v241, 64, v241                               // 00000002F6E8: 69E3E2C0
	s_nop 0                                                    // 00000002F6EC: BF800000
	v_cndmask_b32_e64 v153, v64, v153, s[40:41]                // 00000002F6F0: D1000099 00A33340
	v_cmp_lt_u32_e64 s[40:41], v242, v65                       // 00000002F6F8: D0C90028 000283F2
	v_add_u32_e32 v242, 64, v242                               // 00000002F700: 69E5E4C0
	s_nop 0                                                    // 00000002F704: BF800000
	v_cndmask_b32_e64 v154, v64, v154, s[40:41]                // 00000002F708: D100009A 00A33540
	v_cmp_lt_u32_e64 s[40:41], v243, v65                       // 00000002F710: D0C90028 000283F3
	v_add_u32_e32 v243, 64, v243                               // 00000002F718: 69E7E6C0
	s_nop 0                                                    // 00000002F71C: BF800000
	v_cndmask_b32_e64 v155, v64, v155, s[40:41]                // 00000002F720: D100009B 00A33740
	v_cmp_lt_u32_e64 s[40:41], v240, v65                       // 00000002F728: D0C90028 000283F0
	v_add_u32_e32 v240, 64, v240                               // 00000002F730: 69E1E0C0
	s_nop 0                                                    // 00000002F734: BF800000
	v_cndmask_b32_e64 v156, v64, v156, s[40:41]                // 00000002F738: D100009C 00A33940
	v_cmp_lt_u32_e64 s[40:41], v241, v65                       // 00000002F740: D0C90028 000283F1
	v_add_u32_e32 v241, 64, v241                               // 00000002F748: 69E3E2C0
	s_nop 0                                                    // 00000002F74C: BF800000
	v_cndmask_b32_e64 v157, v64, v157, s[40:41]                // 00000002F750: D100009D 00A33B40
	v_cmp_lt_u32_e64 s[40:41], v242, v65                       // 00000002F758: D0C90028 000283F2
	v_add_u32_e32 v242, 64, v242                               // 00000002F760: 69E5E4C0
	s_nop 0                                                    // 00000002F764: BF800000
	v_cndmask_b32_e64 v158, v64, v158, s[40:41]                // 00000002F768: D100009E 00A33D40
	v_cmp_lt_u32_e64 s[40:41], v243, v65                       // 00000002F770: D0C90028 000283F3
	v_add_u32_e32 v243, 64, v243                               // 00000002F778: 69E7E6C0
	s_nop 0                                                    // 00000002F77C: BF800000
	v_cndmask_b32_e64 v159, v64, v159, s[40:41]                // 00000002F780: D100009F 00A33F40
	v_mov_b32_e32 v48, v144                                    // 00000002F788: 7E600390
	v_max3_f32 v48, v144, v145, v48                            // 00000002F78C: D1D30030 04C32390
	v_max3_f32 v48, v146, v147, v48                            // 00000002F794: D1D30030 04C32792
	v_max3_f32 v48, v148, v149, v48                            // 00000002F79C: D1D30030 04C32B94
	v_max3_f32 v48, v150, v151, v48                            // 00000002F7A4: D1D30030 04C32F96
	v_max3_f32 v48, v152, v153, v48                            // 00000002F7AC: D1D30030 04C33398
	v_max3_f32 v48, v154, v155, v48                            // 00000002F7B4: D1D30030 04C3379A
	v_max3_f32 v48, v156, v157, v48                            // 00000002F7BC: D1D30030 04C33B9C
	v_max3_f32 v48, v158, v159, v48                            // 00000002F7C4: D1D30030 04C33F9E
	ds_write_b32 v8, v48 offset:16896                          // 00000002F7CC: D81A4200 00003008
	v_mul_f32_e32 v224, v51, v224                              // 00000002F7D4: 0BC1C133
	v_mul_f32_e32 v225, v51, v225                              // 00000002F7D8: 0BC3C333
	v_mul_f32_e32 v226, v51, v226                              // 00000002F7DC: 0BC5C533
	v_mul_f32_e32 v227, v51, v227                              // 00000002F7E0: 0BC7C733
	v_mul_f32_e32 v228, v51, v228                              // 00000002F7E4: 0BC9C933
	v_mul_f32_e32 v229, v51, v229                              // 00000002F7E8: 0BCBCB33
	v_mul_f32_e32 v230, v51, v230                              // 00000002F7EC: 0BCDCD33
	v_mul_f32_e32 v231, v51, v231                              // 00000002F7F0: 0BCFCF33
	s_waitcnt lgkmcnt(0)                                       // 00000002F7F4: BF8CC07F
	s_barrier                                                  // 00000002F7F8: BF8A0000
	ds_read_b32 v64, v7 offset:16896                           // 00000002F7FC: D86C4200 40000007
	ds_read_b32 v65, v7 offset:16960                           // 00000002F804: D86C4240 41000007
	ds_read_b32 v66, v7 offset:17024                           // 00000002F80C: D86C4280 42000007
	ds_read_b32 v67, v7 offset:17088                           // 00000002F814: D86C42C0 43000007
	ds_read_b32 v68, v7 offset:17152                           // 00000002F81C: D86C4300 44000007
	ds_read_b32 v69, v7 offset:17216                           // 00000002F824: D86C4340 45000007
	ds_read_b32 v70, v7 offset:17280                           // 00000002F82C: D86C4380 46000007
	ds_read_b32 v71, v7 offset:17344                           // 00000002F834: D86C43C0 47000007
	ds_read_b32 v72, v7 offset:17408                           // 00000002F83C: D86C4400 48000007
	ds_read_b32 v73, v7 offset:17472                           // 00000002F844: D86C4440 49000007
	ds_read_b32 v74, v7 offset:17536                           // 00000002F84C: D86C4480 4A000007
	ds_read_b32 v75, v7 offset:17600                           // 00000002F854: D86C44C0 4B000007
	ds_read_b32 v76, v7 offset:17664                           // 00000002F85C: D86C4500 4C000007
	ds_read_b32 v77, v7 offset:17728                           // 00000002F864: D86C4540 4D000007
	ds_read_b32 v78, v7 offset:17792                           // 00000002F86C: D86C4580 4E000007
	ds_read_b32 v79, v7 offset:17856                           // 00000002F874: D86C45C0 4F000007
	v_cvt_f32_i32_e32 v192, v192                               // 00000002F87C: 7F800BC0
	v_cvt_f32_i32_e32 v193, v193                               // 00000002F880: 7F820BC1
	v_cvt_f32_i32_e32 v194, v194                               // 00000002F884: 7F840BC2
	v_cvt_f32_i32_e32 v195, v195                               // 00000002F888: 7F860BC3
	v_cvt_f32_i32_e32 v196, v196                               // 00000002F88C: 7F880BC4
	v_cvt_f32_i32_e32 v197, v197                               // 00000002F890: 7F8A0BC5
	v_cvt_f32_i32_e32 v198, v198                               // 00000002F894: 7F8C0BC6
	v_cvt_f32_i32_e32 v199, v199                               // 00000002F898: 7F8E0BC7
	v_mul_f32_e32 v192, v46, v192                              // 00000002F89C: 0B81812E
	v_mul_f32_e32 v193, v46, v193                              // 00000002F8A0: 0B83832E
	v_mul_f32_e32 v194, v46, v194                              // 00000002F8A4: 0B85852E
	v_mul_f32_e32 v195, v46, v195                              // 00000002F8A8: 0B87872E
	v_mul_f32_e32 v196, v46, v196                              // 00000002F8AC: 0B89892E
	v_mul_f32_e32 v197, v46, v197                              // 00000002F8B0: 0B8B8B2E
	v_mul_f32_e32 v198, v46, v198                              // 00000002F8B4: 0B8D8D2E
	v_mul_f32_e32 v199, v46, v199                              // 00000002F8B8: 0B8F8F2E
	s_waitcnt lgkmcnt(0)                                       // 00000002F8BC: BF8CC07F
	v_max3_f32 v48, v64, v65, v48                              // 00000002F8C0: D1D30030 04C28340
	v_max3_f32 v48, v66, v67, v48                              // 00000002F8C8: D1D30030 04C28742
	v_max3_f32 v48, v68, v69, v48                              // 00000002F8D0: D1D30030 04C28B44
	v_max3_f32 v48, v70, v71, v48                              // 00000002F8D8: D1D30030 04C28F46
	v_max3_f32 v48, v72, v73, v48                              // 00000002F8E0: D1D30030 04C29348
	v_max3_f32 v48, v74, v75, v48                              // 00000002F8E8: D1D30030 04C2974A
	v_max3_f32 v48, v76, v77, v48                              // 00000002F8F0: D1D30030 04C29B4C
	v_max3_f32 v48, v78, v79, v48                              // 00000002F8F8: D1D30030 04C29F4E
	v_mov_b32_e32 v64, 0xff800000                              // 00000002F900: 7E8002FF FF800000
	v_cmp_eq_u32_e64 s[40:41], v64, v13                        // 00000002F908: D0CA0028 00021B40
	s_nop 1                                                    // 00000002F910: BF800001
	v_max_f32_e32 v15, v48, v13                                // 00000002F914: 161E1B30
	v_mul_f32_e32 v53, s64, v15                                // 00000002F918: 0A6A1E40
	v_fma_f32 v144, v144, s64, -v53                            // 00000002F91C: D1CB0090 84D48190
	v_fma_f32 v145, v145, s64, -v53                            // 00000002F924: D1CB0091 84D48191
	v_fma_f32 v146, v146, s64, -v53                            // 00000002F92C: D1CB0092 84D48192
	v_fma_f32 v147, v147, s64, -v53                            // 00000002F934: D1CB0093 84D48193
	v_fma_f32 v148, v148, s64, -v53                            // 00000002F93C: D1CB0094 84D48194
	v_fma_f32 v149, v149, s64, -v53                            // 00000002F944: D1CB0095 84D48195
	v_fma_f32 v150, v150, s64, -v53                            // 00000002F94C: D1CB0096 84D48196
	v_fma_f32 v151, v151, s64, -v53                            // 00000002F954: D1CB0097 84D48197
	v_fma_f32 v152, v152, s64, -v53                            // 00000002F95C: D1CB0098 84D48198
	v_fma_f32 v153, v153, s64, -v53                            // 00000002F964: D1CB0099 84D48199
	v_fma_f32 v154, v154, s64, -v53                            // 00000002F96C: D1CB009A 84D4819A
	v_fma_f32 v155, v155, s64, -v53                            // 00000002F974: D1CB009B 84D4819B
	v_fma_f32 v156, v156, s64, -v53                            // 00000002F97C: D1CB009C 84D4819C
	v_fma_f32 v157, v157, s64, -v53                            // 00000002F984: D1CB009D 84D4819D
	v_fma_f32 v158, v158, s64, -v53                            // 00000002F98C: D1CB009E 84D4819E
	v_fma_f32 v159, v159, s64, -v53                            // 00000002F994: D1CB009F 84D4819F
	v_exp_f32_e32 v144, v144                                   // 00000002F99C: 7F204190
	v_exp_f32_e32 v145, v145                                   // 00000002F9A0: 7F224191
	v_exp_f32_e32 v146, v146                                   // 00000002F9A4: 7F244192
	v_exp_f32_e32 v147, v147                                   // 00000002F9A8: 7F264193
	v_exp_f32_e32 v148, v148                                   // 00000002F9AC: 7F284194
	v_exp_f32_e32 v149, v149                                   // 00000002F9B0: 7F2A4195
	v_exp_f32_e32 v150, v150                                   // 00000002F9B4: 7F2C4196
	v_exp_f32_e32 v151, v151                                   // 00000002F9B8: 7F2E4197
	v_exp_f32_e32 v152, v152                                   // 00000002F9BC: 7F304198
	v_exp_f32_e32 v153, v153                                   // 00000002F9C0: 7F324199
	v_exp_f32_e32 v154, v154                                   // 00000002F9C4: 7F34419A
	v_exp_f32_e32 v155, v155                                   // 00000002F9C8: 7F36419B
	v_exp_f32_e32 v156, v156                                   // 00000002F9CC: 7F38419C
	v_exp_f32_e32 v157, v157                                   // 00000002F9D0: 7F3A419D
	v_exp_f32_e32 v158, v158                                   // 00000002F9D4: 7F3C419E
	v_exp_f32_e32 v159, v159                                   // 00000002F9D8: 7F3E419F
	v_mul_f32_dpp v240, v252, v144 quad_perm:[0,0,0,0] row_mask:0xf bank_mask:0xf// 00000002F9DC: 0BE120FA FF0000FC
	v_mul_f32_dpp v241, v252, v145 quad_perm:[1,1,1,1] row_mask:0xf bank_mask:0xf// 00000002F9E4: 0BE322FA FF0055FC
	v_mul_f32_dpp v242, v252, v146 quad_perm:[2,2,2,2] row_mask:0xf bank_mask:0xf// 00000002F9EC: 0BE524FA FF00AAFC
	v_mul_f32_dpp v243, v252, v147 quad_perm:[3,3,3,3] row_mask:0xf bank_mask:0xf// 00000002F9F4: 0BE726FA FF00FFFC
	v_mul_f32_dpp v244, v253, v148 quad_perm:[0,0,0,0] row_mask:0xf bank_mask:0xf// 00000002F9FC: 0BE928FA FF0000FD
	v_mul_f32_dpp v245, v253, v149 quad_perm:[1,1,1,1] row_mask:0xf bank_mask:0xf// 00000002FA04: 0BEB2AFA FF0055FD
	v_mul_f32_dpp v246, v253, v150 quad_perm:[2,2,2,2] row_mask:0xf bank_mask:0xf// 00000002FA0C: 0BED2CFA FF00AAFD
	v_mul_f32_dpp v247, v253, v151 quad_perm:[3,3,3,3] row_mask:0xf bank_mask:0xf// 00000002FA14: 0BEF2EFA FF00FFFD
	v_mul_f32_dpp v248, v254, v152 quad_perm:[0,0,0,0] row_mask:0xf bank_mask:0xf// 00000002FA1C: 0BF130FA FF0000FE
	v_mul_f32_dpp v249, v254, v153 quad_perm:[1,1,1,1] row_mask:0xf bank_mask:0xf// 00000002FA24: 0BF332FA FF0055FE
	v_mul_f32_dpp v250, v254, v154 quad_perm:[2,2,2,2] row_mask:0xf bank_mask:0xf// 00000002FA2C: 0BF534FA FF00AAFE
	v_mul_f32_dpp v251, v254, v155 quad_perm:[3,3,3,3] row_mask:0xf bank_mask:0xf// 00000002FA34: 0BF736FA FF00FFFE
	v_mul_f32_dpp v252, v255, v156 quad_perm:[0,0,0,0] row_mask:0xf bank_mask:0xf// 00000002FA3C: 0BF938FA FF0000FF
	v_mul_f32_dpp v253, v255, v157 quad_perm:[1,1,1,1] row_mask:0xf bank_mask:0xf// 00000002FA44: 0BFB3AFA FF0055FF
	v_mul_f32_dpp v254, v255, v158 quad_perm:[2,2,2,2] row_mask:0xf bank_mask:0xf// 00000002FA4C: 0BFD3CFA FF00AAFF
	v_mul_f32_dpp v255, v255, v159 quad_perm:[3,3,3,3] row_mask:0xf bank_mask:0xf// 00000002FA54: 0BFF3EFA FF00FFFF
	v_mov_b32_e32 v48, 0x358637bd                              // 00000002FA5C: 7E6002FF 358637BD
	v_max3_f32 v48, |v240|, |v241|, v48                        // 00000002FA64: D1D30330 04C3E3F0
	v_max3_f32 v48, |v242|, |v243|, v48                        // 00000002FA6C: D1D30330 04C3E7F2
	v_max3_f32 v48, |v244|, |v245|, v48                        // 00000002FA74: D1D30330 04C3EBF4
	v_max3_f32 v48, |v246|, |v247|, v48                        // 00000002FA7C: D1D30330 04C3EFF6
	v_max3_f32 v48, |v248|, |v249|, v48                        // 00000002FA84: D1D30330 04C3F3F8
	v_max3_f32 v48, |v250|, |v251|, v48                        // 00000002FA8C: D1D30330 04C3F7FA
	v_max3_f32 v48, |v252|, |v253|, v48                        // 00000002FA94: D1D30330 04C3FBFC
	v_max3_f32 v48, |v254|, |v255|, v48                        // 00000002FA9C: D1D30330 04C3FFFE
	ds_write_b32 v8, v48 offset:20992                          // 00000002FAA4: D81A5200 00003008
	v_sub_f32_e32 v51, v13, v15                                // 00000002FAAC: 04661F0D
	v_cndmask_b32_e64 v51, v51, 0, s[40:41]                    // 00000002FAB0: D1000033 00A10133
	v_mov_b32_e32 v13, v15                                     // 00000002FAB8: 7E1A030F
	v_mul_f32_e32 v51, s64, v51                                // 00000002FABC: 0A666640
	v_exp_f32_e32 v51, v51                                     // 00000002FAC0: 7E664133
	s_waitcnt lgkmcnt(0)                                       // 00000002FAC4: BF8CC07F
	s_barrier                                                  // 00000002FAC8: BF8A0000
	ds_read_b32 v64, v7 offset:20992                           // 00000002FACC: D86C5200 40000007
	ds_read_b32 v65, v7 offset:21056                           // 00000002FAD4: D86C5240 41000007
	ds_read_b32 v66, v7 offset:21120                           // 00000002FADC: D86C5280 42000007
	ds_read_b32 v67, v7 offset:21184                           // 00000002FAE4: D86C52C0 43000007
	ds_read_b32 v68, v7 offset:21248                           // 00000002FAEC: D86C5300 44000007
	ds_read_b32 v69, v7 offset:21312                           // 00000002FAF4: D86C5340 45000007
	ds_read_b32 v70, v7 offset:21376                           // 00000002FAFC: D86C5380 46000007
	ds_read_b32 v71, v7 offset:21440                           // 00000002FB04: D86C53C0 47000007
	ds_read_b32 v72, v7 offset:21504                           // 00000002FB0C: D86C5400 48000007
	ds_read_b32 v73, v7 offset:21568                           // 00000002FB14: D86C5440 49000007
	ds_read_b32 v74, v7 offset:21632                           // 00000002FB1C: D86C5480 4A000007
	ds_read_b32 v75, v7 offset:21696                           // 00000002FB24: D86C54C0 4B000007
	ds_read_b32 v76, v7 offset:21760                           // 00000002FB2C: D86C5500 4C000007
	ds_read_b32 v77, v7 offset:21824                           // 00000002FB34: D86C5540 4D000007
	ds_read_b32 v78, v7 offset:21888                           // 00000002FB3C: D86C5580 4E000007
	ds_read_b32 v79, v7 offset:21952                           // 00000002FB44: D86C55C0 4F000007
	v_mul_f32_e32 v40, v51, v40                                // 00000002FB4C: 0A505133
	v_mov_b32_e32 v15, v144                                    // 00000002FB50: 7E1E0390
	v_add_f32_e32 v15, v145, v15                               // 00000002FB54: 021E1F91
	v_add_f32_e32 v15, v146, v15                               // 00000002FB58: 021E1F92
	v_add_f32_e32 v15, v147, v15                               // 00000002FB5C: 021E1F93
	v_add_f32_e32 v15, v148, v15                               // 00000002FB60: 021E1F94
	v_add_f32_e32 v15, v149, v15                               // 00000002FB64: 021E1F95
	v_add_f32_e32 v15, v150, v15                               // 00000002FB68: 021E1F96
	v_add_f32_e32 v15, v151, v15                               // 00000002FB6C: 021E1F97
	v_add_f32_e32 v15, v152, v15                               // 00000002FB70: 021E1F98
	v_add_f32_e32 v15, v153, v15                               // 00000002FB74: 021E1F99
	v_add_f32_e32 v15, v154, v15                               // 00000002FB78: 021E1F9A
	v_add_f32_e32 v15, v155, v15                               // 00000002FB7C: 021E1F9B
	v_add_f32_e32 v15, v156, v15                               // 00000002FB80: 021E1F9C
	v_add_f32_e32 v15, v157, v15                               // 00000002FB84: 021E1F9D
	v_add_f32_e32 v15, v158, v15                               // 00000002FB88: 021E1F9E
	v_add_f32_e32 v15, v159, v15                               // 00000002FB8C: 021E1F9F
	v_add_f32_e32 v40, v15, v40                                // 00000002FB90: 0250510F
	s_waitcnt lgkmcnt(0)                                       // 00000002FB94: BF8CC07F
	v_max3_f32 v48, |v64|, |v65|, v48                          // 00000002FB98: D1D30330 04C28340
	v_max3_f32 v48, |v66|, |v67|, v48                          // 00000002FBA0: D1D30330 04C28742
	v_max3_f32 v48, |v68|, |v69|, v48                          // 00000002FBA8: D1D30330 04C28B44
	v_max3_f32 v48, |v70|, |v71|, v48                          // 00000002FBB0: D1D30330 04C28F46
	v_max3_f32 v48, |v72|, |v73|, v48                          // 00000002FBB8: D1D30330 04C29348
	v_max3_f32 v48, |v74|, |v75|, v48                          // 00000002FBC0: D1D30330 04C2974A
	v_max3_f32 v48, |v76|, |v77|, v48                          // 00000002FBC8: D1D30330 04C29B4C
	v_max3_f32 v48, |v78|, |v79|, v48                          // 00000002FBD0: D1D30330 04C29F4E
	s_nop 2                                                    // 00000002FBD8: BF800002
	v_rcp_f32_e32 v48, v48                                     // 00000002FBDC: 7E604530
	s_nop 1                                                    // 00000002FBE0: BF800001
	v_mul_f32_e32 v48, 0x42fe0000, v48                         // 00000002FBE4: 0A6060FF 42FE0000
	v_mul_f32_e32 v144, v48, v240                              // 00000002FBEC: 0B21E130
	v_mul_f32_e32 v145, v48, v241                              // 00000002FBF0: 0B23E330
	v_mul_f32_e32 v146, v48, v242                              // 00000002FBF4: 0B25E530
	v_mul_f32_e32 v147, v48, v243                              // 00000002FBF8: 0B27E730
	v_mul_f32_e32 v148, v48, v244                              // 00000002FBFC: 0B29E930
	v_mul_f32_e32 v149, v48, v245                              // 00000002FC00: 0B2BEB30
	v_mul_f32_e32 v150, v48, v246                              // 00000002FC04: 0B2DED30
	v_mul_f32_e32 v151, v48, v247                              // 00000002FC08: 0B2FEF30
	v_mul_f32_e32 v152, v48, v248                              // 00000002FC0C: 0B31F130
	v_mul_f32_e32 v153, v48, v249                              // 00000002FC10: 0B33F330
	v_mul_f32_e32 v154, v48, v250                              // 00000002FC14: 0B35F530
	v_mul_f32_e32 v155, v48, v251                              // 00000002FC18: 0B37F730
	v_mul_f32_e32 v156, v48, v252                              // 00000002FC1C: 0B39F930
	v_mul_f32_e32 v157, v48, v253                              // 00000002FC20: 0B3BFB30
	v_mul_f32_e32 v158, v48, v254                              // 00000002FC24: 0B3DFD30
	v_mul_f32_e32 v159, v48, v255                              // 00000002FC28: 0B3FFF30
	v_cvt_i32_f32_e32 v144, v144                               // 00000002FC2C: 7F201190
	v_cvt_i32_f32_e32 v145, v145                               // 00000002FC30: 7F221191
	v_cvt_i32_f32_e32 v146, v146                               // 00000002FC34: 7F241192
	v_cvt_i32_f32_e32 v147, v147                               // 00000002FC38: 7F261193
	v_cvt_i32_f32_e32 v148, v148                               // 00000002FC3C: 7F281194
	v_cvt_i32_f32_e32 v149, v149                               // 00000002FC40: 7F2A1195
	v_cvt_i32_f32_e32 v150, v150                               // 00000002FC44: 7F2C1196
	v_cvt_i32_f32_e32 v151, v151                               // 00000002FC48: 7F2E1197
	v_cvt_i32_f32_e32 v152, v152                               // 00000002FC4C: 7F301198
	v_cvt_i32_f32_e32 v153, v153                               // 00000002FC50: 7F321199
	v_cvt_i32_f32_e32 v154, v154                               // 00000002FC54: 7F34119A
	v_cvt_i32_f32_e32 v155, v155                               // 00000002FC58: 7F36119B
	v_cvt_i32_f32_e32 v156, v156                               // 00000002FC5C: 7F38119C
	v_cvt_i32_f32_e32 v157, v157                               // 00000002FC60: 7F3A119D
	v_cvt_i32_f32_e32 v158, v158                               // 00000002FC64: 7F3C119E
	v_cvt_i32_f32_e32 v159, v159                               // 00000002FC68: 7F3E119F
	v_perm_b32 v144, v145, v144, s53                           // 00000002FC6C: D1ED0090 00D72191
	v_perm_b32 v144, v146, v144, s54                           // 00000002FC74: D1ED0090 00DB2192
	v_perm_b32 v144, v147, v144, s55                           // 00000002FC7C: D1ED0090 00DF2193
	v_perm_b32 v145, v149, v148, s53                           // 00000002FC84: D1ED0091 00D72995
	v_perm_b32 v145, v150, v145, s54                           // 00000002FC8C: D1ED0091 00DB2396
	v_perm_b32 v145, v151, v145, s55                           // 00000002FC94: D1ED0091 00DF2397
	v_perm_b32 v146, v153, v152, s53                           // 00000002FC9C: D1ED0092 00D73199
	v_perm_b32 v146, v154, v146, s54                           // 00000002FCA4: D1ED0092 00DB259A
	v_perm_b32 v146, v155, v146, s55                           // 00000002FCAC: D1ED0092 00DF259B
	v_perm_b32 v147, v157, v156, s53                           // 00000002FCB4: D1ED0093 00D7399D
	v_perm_b32 v147, v158, v147, s54                           // 00000002FCBC: D1ED0093 00DB279E
	v_perm_b32 v147, v159, v147, s55                           // 00000002FCC4: D1ED0093 00DF279F
	ds_write_b32 v10, v144 offset:33280                        // 00000002FCCC: D81A8200 0000900A
	ds_write_b32 v10, v145 offset:34304                        // 00000002FCD4: D81A8600 0000910A
	ds_write_b32 v10, v146 offset:35328                        // 00000002FCDC: D81A8A00 0000920A
	ds_write_b32 v10, v147 offset:36352                        // 00000002FCE4: D81A8E00 0000930A
	v_add_f32_e32 v224, v224, v192                             // 00000002FCEC: 03C181E0
	v_add_f32_e32 v225, v225, v193                             // 00000002FCF0: 03C383E1
	v_add_f32_e32 v226, v226, v194                             // 00000002FCF4: 03C585E2
	v_add_f32_e32 v227, v227, v195                             // 00000002FCF8: 03C787E3
	v_add_f32_e32 v228, v228, v196                             // 00000002FCFC: 03C989E4
	v_add_f32_e32 v229, v229, v197                             // 00000002FD00: 03CB8BE5
	v_add_f32_e32 v230, v230, v198                             // 00000002FD04: 03CD8DE6
	v_add_f32_e32 v231, v231, v199                             // 00000002FD08: 03CF8FE7
	v_rcp_f32_e32 v46, v48                                     // 00000002FD0C: 7E5C4530
	s_waitcnt lgkmcnt(0)                                       // 00000002FD10: BF8CC07F
	s_barrier                                                  // 00000002FD14: BF8A0000
	ds_read_b64 v[144:145], v9 offset:33280                    // 00000002FD18: D8EC8200 90000009
	ds_read_b64 v[146:147], v9 offset:33408                    // 00000002FD20: D8EC8280 92000009
	ds_read_b64 v[148:149], v9 offset:34304                    // 00000002FD28: D8EC8600 94000009
	ds_read_b64 v[150:151], v9 offset:34432                    // 00000002FD30: D8EC8680 96000009
	ds_read_b64 v[152:153], v9 offset:35328                    // 00000002FD38: D8EC8A00 98000009
	ds_read_b64 v[154:155], v9 offset:35456                    // 00000002FD40: D8EC8A80 9A000009
	ds_read_b64 v[156:157], v9 offset:36352                    // 00000002FD48: D8EC8E00 9C000009
	ds_read_b64 v[158:159], v9 offset:36480                    // 00000002FD50: D8EC8E80 9E000009
	v_mov_b32_dpp v64, v43 row_shr:4 row_mask:0xf bank_mask:0xf// 00000002FD58: 7E8002FA FF01142B
	v_mov_b32_dpp v65, v43 row_shl:4 row_mask:0xf bank_mask:0xf// 00000002FD60: 7E8202FA FF01042B
	v_cndmask_b32_e64 v248, v43, v64, s[44:45]                 // 00000002FD68: D10000F8 00B2812B
	v_cndmask_b32_e64 v249, v65, v43, s[44:45]                 // 00000002FD70: D10000F9 00B25741
	v_mov_b32_dpp v64, v248 row_shr:8 row_mask:0xf bank_mask:0xf// 00000002FD78: 7E8002FA FF0118F8
	v_mov_b32_dpp v65, v248 row_shl:8 row_mask:0xf bank_mask:0xf// 00000002FD80: 7E8202FA FF0108F8
	v_mov_b32_dpp v66, v249 row_shr:8 row_mask:0xf bank_mask:0xf// 00000002FD88: 7E8402FA FF0118F9
	v_mov_b32_dpp v67, v249 row_shl:8 row_mask:0xf bank_mask:0xf// 00000002FD90: 7E8602FA FF0108F9
	v_mov_b32_e32 v68, v248                                    // 00000002FD98: 7E8803F8
	v_mov_b32_e32 v69, v249                                    // 00000002FD9C: 7E8A03F9
	v_cndmask_b32_e64 v248, v68, v64, s[42:43]                 // 00000002FDA0: D10000F8 00AA8144
	v_cndmask_b32_e64 v250, v68, v65, s[78:79]                 // 00000002FDA8: D10000FA 013A8344
	v_cndmask_b32_e64 v249, v69, v66, s[42:43]                 // 00000002FDB0: D10000F9 00AA8545
	v_cndmask_b32_e64 v251, v69, v67, s[78:79]                 // 00000002FDB8: D10000FB 013A8745
	v_mov_b32_dpp v64, v58 row_shr:4 row_mask:0xf bank_mask:0xf// 00000002FDC0: 7E8002FA FF01143A
	v_mov_b32_dpp v65, v58 row_shl:4 row_mask:0xf bank_mask:0xf// 00000002FDC8: 7E8202FA FF01043A
	v_cndmask_b32_e64 v252, v58, v64, s[44:45]                 // 00000002FDD0: D10000FC 00B2813A
	v_cndmask_b32_e64 v253, v65, v58, s[44:45]                 // 00000002FDD8: D10000FD 00B27541
	v_mov_b32_dpp v64, v252 row_shr:8 row_mask:0xf bank_mask:0xf// 00000002FDE0: 7E8002FA FF0118FC
	v_mov_b32_dpp v65, v252 row_shl:8 row_mask:0xf bank_mask:0xf// 00000002FDE8: 7E8202FA FF0108FC
	v_mov_b32_dpp v66, v253 row_shr:8 row_mask:0xf bank_mask:0xf// 00000002FDF0: 7E8402FA FF0118FD
	v_mov_b32_dpp v67, v253 row_shl:8 row_mask:0xf bank_mask:0xf// 00000002FDF8: 7E8602FA FF0108FD
	v_mov_b32_e32 v68, v252                                    // 00000002FE00: 7E8803FC
	v_mov_b32_e32 v69, v253                                    // 00000002FE04: 7E8A03FD
	v_cndmask_b32_e64 v252, v68, v64, s[42:43]                 // 00000002FE08: D10000FC 00AA8144
	v_cndmask_b32_e64 v254, v68, v65, s[78:79]                 // 00000002FE10: D10000FE 013A8344
	v_cndmask_b32_e64 v253, v69, v66, s[42:43]                 // 00000002FE18: D10000FD 00AA8545
	v_cndmask_b32_e64 v255, v69, v67, s[78:79]                 // 00000002FE20: D10000FF 013A8745
	v_cvt_f32_i32_e32 v160, v160                               // 00000002FE28: 7F400BA0
	v_cvt_f32_i32_e32 v161, v161                               // 00000002FE2C: 7F420BA1
	v_cvt_f32_i32_e32 v162, v162                               // 00000002FE30: 7F440BA2
	v_cvt_f32_i32_e32 v163, v163                               // 00000002FE34: 7F460BA3
	v_cvt_f32_i32_e32 v164, v164                               // 00000002FE38: 7F480BA4
	v_cvt_f32_i32_e32 v165, v165                               // 00000002FE3C: 7F4A0BA5
	v_cvt_f32_i32_e32 v166, v166                               // 00000002FE40: 7F4C0BA6
	v_cvt_f32_i32_e32 v167, v167                               // 00000002FE44: 7F4E0BA7
	v_cvt_f32_i32_e32 v168, v168                               // 00000002FE48: 7F500BA8
	v_cvt_f32_i32_e32 v169, v169                               // 00000002FE4C: 7F520BA9
	v_cvt_f32_i32_e32 v170, v170                               // 00000002FE50: 7F540BAA
	v_cvt_f32_i32_e32 v171, v171                               // 00000002FE54: 7F560BAB
	v_cvt_f32_i32_e32 v172, v172                               // 00000002FE58: 7F580BAC
	v_cvt_f32_i32_e32 v173, v173                               // 00000002FE5C: 7F5A0BAD
	v_cvt_f32_i32_e32 v174, v174                               // 00000002FE60: 7F5C0BAE
	v_cvt_f32_i32_e32 v175, v175                               // 00000002FE64: 7F5E0BAF
	v_mul_f32_e32 v160, v21, v160                              // 00000002FE68: 0B414115
	v_mul_f32_e32 v161, v21, v161                              // 00000002FE6C: 0B434315
	v_mul_f32_e32 v162, v21, v162                              // 00000002FE70: 0B454515
	v_mul_f32_e32 v163, v21, v163                              // 00000002FE74: 0B474715
	v_mul_f32_e32 v164, v21, v164                              // 00000002FE78: 0B494915
	v_mul_f32_e32 v165, v21, v165                              // 00000002FE7C: 0B4B4B15
	v_mul_f32_e32 v166, v21, v166                              // 00000002FE80: 0B4D4D15
	v_mul_f32_e32 v167, v21, v167                              // 00000002FE84: 0B4F4F15
	v_mul_f32_e32 v168, v21, v168                              // 00000002FE88: 0B515115
	v_mul_f32_e32 v169, v21, v169                              // 00000002FE8C: 0B535315
	v_mul_f32_e32 v170, v21, v170                              // 00000002FE90: 0B555515
	v_mul_f32_e32 v171, v21, v171                              // 00000002FE94: 0B575715
	v_mul_f32_e32 v172, v21, v172                              // 00000002FE98: 0B595915
	v_mul_f32_e32 v173, v21, v173                              // 00000002FE9C: 0B5B5B15
	v_mul_f32_e32 v174, v21, v174                              // 00000002FEA0: 0B5D5D15
	v_mul_f32_e32 v175, v21, v175                              // 00000002FEA4: 0B5F5F15
	v_mul_f32_dpp v160, v248, v160 quad_perm:[0,0,0,0] row_mask:0xf bank_mask:0xf// 00000002FEA8: 0B4140FA FF0000F8
	v_mul_f32_dpp v161, v248, v161 quad_perm:[1,1,1,1] row_mask:0xf bank_mask:0xf// 00000002FEB0: 0B4342FA FF0055F8
	v_mul_f32_dpp v162, v248, v162 quad_perm:[2,2,2,2] row_mask:0xf bank_mask:0xf// 00000002FEB8: 0B4544FA FF00AAF8
	v_mul_f32_dpp v163, v248, v163 quad_perm:[3,3,3,3] row_mask:0xf bank_mask:0xf// 00000002FEC0: 0B4746FA FF00FFF8
	v_mul_f32_dpp v164, v249, v164 quad_perm:[0,0,0,0] row_mask:0xf bank_mask:0xf// 00000002FEC8: 0B4948FA FF0000F9
	v_mul_f32_dpp v165, v249, v165 quad_perm:[1,1,1,1] row_mask:0xf bank_mask:0xf// 00000002FED0: 0B4B4AFA FF0055F9
	v_mul_f32_dpp v166, v249, v166 quad_perm:[2,2,2,2] row_mask:0xf bank_mask:0xf// 00000002FED8: 0B4D4CFA FF00AAF9
	v_mul_f32_dpp v167, v249, v167 quad_perm:[3,3,3,3] row_mask:0xf bank_mask:0xf// 00000002FEE0: 0B4F4EFA FF00FFF9
	v_mul_f32_dpp v168, v250, v168 quad_perm:[0,0,0,0] row_mask:0xf bank_mask:0xf// 00000002FEE8: 0B5150FA FF0000FA
	v_mul_f32_dpp v169, v250, v169 quad_perm:[1,1,1,1] row_mask:0xf bank_mask:0xf// 00000002FEF0: 0B5352FA FF0055FA
	v_mul_f32_dpp v170, v250, v170 quad_perm:[2,2,2,2] row_mask:0xf bank_mask:0xf// 00000002FEF8: 0B5554FA FF00AAFA
	v_mul_f32_dpp v171, v250, v171 quad_perm:[3,3,3,3] row_mask:0xf bank_mask:0xf// 00000002FF00: 0B5756FA FF00FFFA
	v_mul_f32_dpp v172, v251, v172 quad_perm:[0,0,0,0] row_mask:0xf bank_mask:0xf// 00000002FF08: 0B5958FA FF0000FB
	v_mul_f32_dpp v173, v251, v173 quad_perm:[1,1,1,1] row_mask:0xf bank_mask:0xf// 00000002FF10: 0B5B5AFA FF0055FB
	v_mul_f32_dpp v174, v251, v174 quad_perm:[2,2,2,2] row_mask:0xf bank_mask:0xf// 00000002FF18: 0B5D5CFA FF00AAFB
	v_mul_f32_dpp v175, v251, v175 quad_perm:[3,3,3,3] row_mask:0xf bank_mask:0xf// 00000002FF20: 0B5F5EFA FF00FFFB
	s_cmp_le_i32 s90, s89                                      // 00000002FF28: BF05595A
	s_cbranch_scc1 label_B7BD                                  // 00000002FF2C: BF850071
	v_mov_b32_e32 v66, 0xff800000                              // 00000002FF30: 7E8402FF FF800000
	s_mov_b32 s60, s90                                         // 00000002FF38: BEBC005A
	s_add_u32 s61, s89, 0xff                                   // 00000002FF3C: 803DFF59 000000FF
	v_mov_b32_e32 v64, s61                                     // 00000002FF44: 7E80023D
	v_lshrrev_b32_e32 v240, 4, v0                              // 00000002FF48: 21E00084
	v_mul_i32_i24_e32 v240, 4, v240                            // 00000002FF4C: 0DE1E084
	v_add_u32_e32 v240, s60, v240                              // 00000002FF50: 69E1E03C
	s_mov_b32 s61, 3                                           // 00000002FF54: BEBD0083
	s_mul_i32 s60, 16, s7                                      // 00000002FF58: 923C0790
	v_sub_u32_e64 v240, v240, s61                              // 00000002FF5C: D13500F0 00007BF0
	v_add_u32_e32 v240, s60, v240                              // 00000002FF64: 69E1E03C
	v_add_u32_e32 v241, 1, v240                                // 00000002FF68: 69E3E081
	v_add_u32_e32 v242, 2, v240                                // 00000002FF6C: 69E5E082
	v_add_u32_e32 v243, 3, v240                                // 00000002FF70: 69E7E083
	v_cmp_le_u32_e64 s[40:41], v240, v64                       // 00000002FF74: D0CB0028 000281F0
	v_add_u32_e32 v240, 64, v240                               // 00000002FF7C: 69E1E0C0
	s_nop 0                                                    // 00000002FF80: BF800000
	v_cndmask_b32_e64 v160, v66, v160, s[40:41]                // 00000002FF84: D10000A0 00A34142
	v_cmp_le_u32_e64 s[40:41], v241, v64                       // 00000002FF8C: D0CB0028 000281F1
	v_add_u32_e32 v241, 64, v241                               // 00000002FF94: 69E3E2C0
	s_nop 0                                                    // 00000002FF98: BF800000
	v_cndmask_b32_e64 v161, v66, v161, s[40:41]                // 00000002FF9C: D10000A1 00A34342
	v_cmp_le_u32_e64 s[40:41], v242, v64                       // 00000002FFA4: D0CB0028 000281F2
	v_add_u32_e32 v242, 64, v242                               // 00000002FFAC: 69E5E4C0
	s_nop 0                                                    // 00000002FFB0: BF800000
	v_cndmask_b32_e64 v162, v66, v162, s[40:41]                // 00000002FFB4: D10000A2 00A34542
	v_cmp_le_u32_e64 s[40:41], v243, v64                       // 00000002FFBC: D0CB0028 000281F3
	v_add_u32_e32 v243, 64, v243                               // 00000002FFC4: 69E7E6C0
	s_nop 0                                                    // 00000002FFC8: BF800000
	v_cndmask_b32_e64 v163, v66, v163, s[40:41]                // 00000002FFCC: D10000A3 00A34742
	v_cmp_le_u32_e64 s[40:41], v240, v64                       // 00000002FFD4: D0CB0028 000281F0
	v_add_u32_e32 v240, 64, v240                               // 00000002FFDC: 69E1E0C0
	s_nop 0                                                    // 00000002FFE0: BF800000
	v_cndmask_b32_e64 v164, v66, v164, s[40:41]                // 00000002FFE4: D10000A4 00A34942
	v_cmp_le_u32_e64 s[40:41], v241, v64                       // 00000002FFEC: D0CB0028 000281F1
	v_add_u32_e32 v241, 64, v241                               // 00000002FFF4: 69E3E2C0
	s_nop 0                                                    // 00000002FFF8: BF800000
	v_cndmask_b32_e64 v165, v66, v165, s[40:41]                // 00000002FFFC: D10000A5 00A34B42
	v_cmp_le_u32_e64 s[40:41], v242, v64                       // 000000030004: D0CB0028 000281F2
	v_add_u32_e32 v242, 64, v242                               // 00000003000C: 69E5E4C0
	s_nop 0                                                    // 000000030010: BF800000
	v_cndmask_b32_e64 v166, v66, v166, s[40:41]                // 000000030014: D10000A6 00A34D42
	v_cmp_le_u32_e64 s[40:41], v243, v64                       // 00000003001C: D0CB0028 000281F3
	v_add_u32_e32 v243, 64, v243                               // 000000030024: 69E7E6C0
	s_nop 0                                                    // 000000030028: BF800000
	v_cndmask_b32_e64 v167, v66, v167, s[40:41]                // 00000003002C: D10000A7 00A34F42
	v_cmp_le_u32_e64 s[40:41], v240, v64                       // 000000030034: D0CB0028 000281F0
	v_add_u32_e32 v240, 64, v240                               // 00000003003C: 69E1E0C0
	s_nop 0                                                    // 000000030040: BF800000
	v_cndmask_b32_e64 v168, v66, v168, s[40:41]                // 000000030044: D10000A8 00A35142
	v_cmp_le_u32_e64 s[40:41], v241, v64                       // 00000003004C: D0CB0028 000281F1
	v_add_u32_e32 v241, 64, v241                               // 000000030054: 69E3E2C0
	s_nop 0                                                    // 000000030058: BF800000
	v_cndmask_b32_e64 v169, v66, v169, s[40:41]                // 00000003005C: D10000A9 00A35342
	v_cmp_le_u32_e64 s[40:41], v242, v64                       // 000000030064: D0CB0028 000281F2
	v_add_u32_e32 v242, 64, v242                               // 00000003006C: 69E5E4C0
	s_nop 0                                                    // 000000030070: BF800000
	v_cndmask_b32_e64 v170, v66, v170, s[40:41]                // 000000030074: D10000AA 00A35542
	v_cmp_le_u32_e64 s[40:41], v243, v64                       // 00000003007C: D0CB0028 000281F3
	v_add_u32_e32 v243, 64, v243                               // 000000030084: 69E7E6C0
	s_nop 0                                                    // 000000030088: BF800000
	v_cndmask_b32_e64 v171, v66, v171, s[40:41]                // 00000003008C: D10000AB 00A35742
	v_cmp_le_u32_e64 s[40:41], v240, v64                       // 000000030094: D0CB0028 000281F0
	v_add_u32_e32 v240, 64, v240                               // 00000003009C: 69E1E0C0
	s_nop 0                                                    // 0000000300A0: BF800000
	v_cndmask_b32_e64 v172, v66, v172, s[40:41]                // 0000000300A4: D10000AC 00A35942
	v_cmp_le_u32_e64 s[40:41], v241, v64                       // 0000000300AC: D0CB0028 000281F1
	v_add_u32_e32 v241, 64, v241                               // 0000000300B4: 69E3E2C0
	s_nop 0                                                    // 0000000300B8: BF800000
	v_cndmask_b32_e64 v173, v66, v173, s[40:41]                // 0000000300BC: D10000AD 00A35B42
	v_cmp_le_u32_e64 s[40:41], v242, v64                       // 0000000300C4: D0CB0028 000281F2
	v_add_u32_e32 v242, 64, v242                               // 0000000300CC: 69E5E4C0
	s_nop 0                                                    // 0000000300D0: BF800000
	v_cndmask_b32_e64 v174, v66, v174, s[40:41]                // 0000000300D4: D10000AE 00A35D42
	v_cmp_le_u32_e64 s[40:41], v243, v64                       // 0000000300DC: D0CB0028 000281F3
	v_add_u32_e32 v243, 64, v243                               // 0000000300E4: 69E7E6C0
	s_nop 0                                                    // 0000000300E8: BF800000
	v_cndmask_b32_e64 v175, v66, v175, s[40:41]                // 0000000300EC: D10000AF 00A35F42

00000000000300f4 <label_B7BD>:
	s_add_u32 s90, s91, s90                                    // 0000000300F4: 805A5A5B
	s_and_b32 s60, s72, 0xff                                   // 0000000300F8: 863CFF48 000000FF
	v_mov_b32_e32 v65, s60                                     // 000000030100: 7E82023C
	v_lshrrev_b32_e32 v240, 4, v0                              // 000000030104: 21E00084
	v_mul_i32_i24_e32 v240, 4, v240                            // 000000030108: 0DE1E084
	s_mul_i32 s60, s7, 16                                      // 00000003010C: 923C9007
	v_add_u32_e32 v240, s60, v240                              // 000000030110: 69E1E03C
	v_add_u32_e32 v241, 1, v240                                // 000000030114: 69E3E081
	v_add_u32_e32 v242, 2, v240                                // 000000030118: 69E5E082
	v_add_u32_e32 v243, 3, v240                                // 00000003011C: 69E7E083
	v_mov_b32_e32 v64, 0xff800000                              // 000000030120: 7E8002FF FF800000
	v_cmp_lt_u32_e64 s[40:41], v240, v65                       // 000000030128: D0C90028 000283F0
	v_add_u32_e32 v240, 64, v240                               // 000000030130: 69E1E0C0
	s_nop 0                                                    // 000000030134: BF800000
	v_cndmask_b32_e64 v160, v64, v160, s[40:41]                // 000000030138: D10000A0 00A34140
	v_cmp_lt_u32_e64 s[40:41], v241, v65                       // 000000030140: D0C90028 000283F1
	v_add_u32_e32 v241, 64, v241                               // 000000030148: 69E3E2C0
	s_nop 0                                                    // 00000003014C: BF800000
	v_cndmask_b32_e64 v161, v64, v161, s[40:41]                // 000000030150: D10000A1 00A34340
	v_cmp_lt_u32_e64 s[40:41], v242, v65                       // 000000030158: D0C90028 000283F2
	v_add_u32_e32 v242, 64, v242                               // 000000030160: 69E5E4C0
	s_nop 0                                                    // 000000030164: BF800000
	v_cndmask_b32_e64 v162, v64, v162, s[40:41]                // 000000030168: D10000A2 00A34540
	v_cmp_lt_u32_e64 s[40:41], v243, v65                       // 000000030170: D0C90028 000283F3
	v_add_u32_e32 v243, 64, v243                               // 000000030178: 69E7E6C0
	s_nop 0                                                    // 00000003017C: BF800000
	v_cndmask_b32_e64 v163, v64, v163, s[40:41]                // 000000030180: D10000A3 00A34740
	v_cmp_lt_u32_e64 s[40:41], v240, v65                       // 000000030188: D0C90028 000283F0
	v_add_u32_e32 v240, 64, v240                               // 000000030190: 69E1E0C0
	s_nop 0                                                    // 000000030194: BF800000
	v_cndmask_b32_e64 v164, v64, v164, s[40:41]                // 000000030198: D10000A4 00A34940
	v_cmp_lt_u32_e64 s[40:41], v241, v65                       // 0000000301A0: D0C90028 000283F1
	v_add_u32_e32 v241, 64, v241                               // 0000000301A8: 69E3E2C0
	s_nop 0                                                    // 0000000301AC: BF800000
	v_cndmask_b32_e64 v165, v64, v165, s[40:41]                // 0000000301B0: D10000A5 00A34B40
	v_cmp_lt_u32_e64 s[40:41], v242, v65                       // 0000000301B8: D0C90028 000283F2
	v_add_u32_e32 v242, 64, v242                               // 0000000301C0: 69E5E4C0
	s_nop 0                                                    // 0000000301C4: BF800000
	v_cndmask_b32_e64 v166, v64, v166, s[40:41]                // 0000000301C8: D10000A6 00A34D40
	v_cmp_lt_u32_e64 s[40:41], v243, v65                       // 0000000301D0: D0C90028 000283F3
	v_add_u32_e32 v243, 64, v243                               // 0000000301D8: 69E7E6C0
	s_nop 0                                                    // 0000000301DC: BF800000
	v_cndmask_b32_e64 v167, v64, v167, s[40:41]                // 0000000301E0: D10000A7 00A34F40
	v_cmp_lt_u32_e64 s[40:41], v240, v65                       // 0000000301E8: D0C90028 000283F0
	v_add_u32_e32 v240, 64, v240                               // 0000000301F0: 69E1E0C0
	s_nop 0                                                    // 0000000301F4: BF800000
	v_cndmask_b32_e64 v168, v64, v168, s[40:41]                // 0000000301F8: D10000A8 00A35140
	v_cmp_lt_u32_e64 s[40:41], v241, v65                       // 000000030200: D0C90028 000283F1
	v_add_u32_e32 v241, 64, v241                               // 000000030208: 69E3E2C0
	s_nop 0                                                    // 00000003020C: BF800000
	v_cndmask_b32_e64 v169, v64, v169, s[40:41]                // 000000030210: D10000A9 00A35340
	v_cmp_lt_u32_e64 s[40:41], v242, v65                       // 000000030218: D0C90028 000283F2
	v_add_u32_e32 v242, 64, v242                               // 000000030220: 69E5E4C0
	s_nop 0                                                    // 000000030224: BF800000
	v_cndmask_b32_e64 v170, v64, v170, s[40:41]                // 000000030228: D10000AA 00A35540
	v_cmp_lt_u32_e64 s[40:41], v243, v65                       // 000000030230: D0C90028 000283F3
	v_add_u32_e32 v243, 64, v243                               // 000000030238: 69E7E6C0
	s_nop 0                                                    // 00000003023C: BF800000
	v_cndmask_b32_e64 v171, v64, v171, s[40:41]                // 000000030240: D10000AB 00A35740
	v_cmp_lt_u32_e64 s[40:41], v240, v65                       // 000000030248: D0C90028 000283F0
	v_add_u32_e32 v240, 64, v240                               // 000000030250: 69E1E0C0
	s_nop 0                                                    // 000000030254: BF800000
	v_cndmask_b32_e64 v172, v64, v172, s[40:41]                // 000000030258: D10000AC 00A35940
	v_cmp_lt_u32_e64 s[40:41], v241, v65                       // 000000030260: D0C90028 000283F1
	v_add_u32_e32 v241, 64, v241                               // 000000030268: 69E3E2C0
	s_nop 0                                                    // 00000003026C: BF800000
	v_cndmask_b32_e64 v173, v64, v173, s[40:41]                // 000000030270: D10000AD 00A35B40
	v_cmp_lt_u32_e64 s[40:41], v242, v65                       // 000000030278: D0C90028 000283F2
	v_add_u32_e32 v242, 64, v242                               // 000000030280: 69E5E4C0
	s_nop 0                                                    // 000000030284: BF800000
	v_cndmask_b32_e64 v174, v64, v174, s[40:41]                // 000000030288: D10000AE 00A35D40
	v_cmp_lt_u32_e64 s[40:41], v243, v65                       // 000000030290: D0C90028 000283F3
	v_add_u32_e32 v243, 64, v243                               // 000000030298: 69E7E6C0
	s_nop 0                                                    // 00000003029C: BF800000
	v_cndmask_b32_e64 v175, v64, v175, s[40:41]                // 0000000302A0: D10000AF 00A35F40
	v_mov_b32_e32 v48, v160                                    // 0000000302A8: 7E6003A0
	v_max3_f32 v48, v160, v161, v48                            // 0000000302AC: D1D30030 04C343A0
	v_max3_f32 v48, v162, v163, v48                            // 0000000302B4: D1D30030 04C347A2
	v_max3_f32 v48, v164, v165, v48                            // 0000000302BC: D1D30030 04C34BA4
	v_max3_f32 v48, v166, v167, v48                            // 0000000302C4: D1D30030 04C34FA6
	v_max3_f32 v48, v168, v169, v48                            // 0000000302CC: D1D30030 04C353A8
	v_max3_f32 v48, v170, v171, v48                            // 0000000302D4: D1D30030 04C357AA
	v_max3_f32 v48, v172, v173, v48                            // 0000000302DC: D1D30030 04C35BAC
	v_max3_f32 v48, v174, v175, v48                            // 0000000302E4: D1D30030 04C35FAE
	ds_write_b32 v8, v48 offset:16896                          // 0000000302EC: D81A4200 00003008
	v_mul_f32_e32 v232, v52, v232                              // 0000000302F4: 0BD1D134
	v_mul_f32_e32 v233, v52, v233                              // 0000000302F8: 0BD3D334
	v_mul_f32_e32 v234, v52, v234                              // 0000000302FC: 0BD5D534
	v_mul_f32_e32 v235, v52, v235                              // 000000030300: 0BD7D734
	v_mul_f32_e32 v236, v52, v236                              // 000000030304: 0BD9D934
	v_mul_f32_e32 v237, v52, v237                              // 000000030308: 0BDBDB34
	v_mul_f32_e32 v238, v52, v238                              // 00000003030C: 0BDDDD34
	v_mul_f32_e32 v239, v52, v239                              // 000000030310: 0BDFDF34
	s_waitcnt lgkmcnt(0)                                       // 000000030314: BF8CC07F
	s_barrier                                                  // 000000030318: BF8A0000
	ds_read_b32 v64, v7 offset:16896                           // 00000003031C: D86C4200 40000007
	ds_read_b32 v65, v7 offset:16960                           // 000000030324: D86C4240 41000007
	ds_read_b32 v66, v7 offset:17024                           // 00000003032C: D86C4280 42000007
	ds_read_b32 v67, v7 offset:17088                           // 000000030334: D86C42C0 43000007
	ds_read_b32 v68, v7 offset:17152                           // 00000003033C: D86C4300 44000007
	ds_read_b32 v69, v7 offset:17216                           // 000000030344: D86C4340 45000007
	ds_read_b32 v70, v7 offset:17280                           // 00000003034C: D86C4380 46000007
	ds_read_b32 v71, v7 offset:17344                           // 000000030354: D86C43C0 47000007
	ds_read_b32 v72, v7 offset:17408                           // 00000003035C: D86C4400 48000007
	ds_read_b32 v73, v7 offset:17472                           // 000000030364: D86C4440 49000007
	ds_read_b32 v74, v7 offset:17536                           // 00000003036C: D86C4480 4A000007
	ds_read_b32 v75, v7 offset:17600                           // 000000030374: D86C44C0 4B000007
	ds_read_b32 v76, v7 offset:17664                           // 00000003037C: D86C4500 4C000007
	ds_read_b32 v77, v7 offset:17728                           // 000000030384: D86C4540 4D000007
	ds_read_b32 v78, v7 offset:17792                           // 00000003038C: D86C4580 4E000007
	ds_read_b32 v79, v7 offset:17856                           // 000000030394: D86C45C0 4F000007
	v_cvt_f32_i32_e32 v200, v200                               // 00000003039C: 7F900BC8
	v_cvt_f32_i32_e32 v201, v201                               // 0000000303A0: 7F920BC9
	v_cvt_f32_i32_e32 v202, v202                               // 0000000303A4: 7F940BCA
	v_cvt_f32_i32_e32 v203, v203                               // 0000000303A8: 7F960BCB
	v_cvt_f32_i32_e32 v204, v204                               // 0000000303AC: 7F980BCC
	v_cvt_f32_i32_e32 v205, v205                               // 0000000303B0: 7F9A0BCD
	v_cvt_f32_i32_e32 v206, v206                               // 0000000303B4: 7F9C0BCE
	v_cvt_f32_i32_e32 v207, v207                               // 0000000303B8: 7F9E0BCF
	v_mul_f32_e32 v200, v47, v200                              // 0000000303BC: 0B91912F
	v_mul_f32_e32 v201, v47, v201                              // 0000000303C0: 0B93932F
	v_mul_f32_e32 v202, v47, v202                              // 0000000303C4: 0B95952F
	v_mul_f32_e32 v203, v47, v203                              // 0000000303C8: 0B97972F
	v_mul_f32_e32 v204, v47, v204                              // 0000000303CC: 0B99992F
	v_mul_f32_e32 v205, v47, v205                              // 0000000303D0: 0B9B9B2F
	v_mul_f32_e32 v206, v47, v206                              // 0000000303D4: 0B9D9D2F
	v_mul_f32_e32 v207, v47, v207                              // 0000000303D8: 0B9F9F2F
	s_waitcnt lgkmcnt(0)                                       // 0000000303DC: BF8CC07F
	v_max3_f32 v48, v64, v65, v48                              // 0000000303E0: D1D30030 04C28340
	v_max3_f32 v48, v66, v67, v48                              // 0000000303E8: D1D30030 04C28742
	v_max3_f32 v48, v68, v69, v48                              // 0000000303F0: D1D30030 04C28B44
	v_max3_f32 v48, v70, v71, v48                              // 0000000303F8: D1D30030 04C28F46
	v_max3_f32 v48, v72, v73, v48                              // 000000030400: D1D30030 04C29348
	v_max3_f32 v48, v74, v75, v48                              // 000000030408: D1D30030 04C2974A
	v_max3_f32 v48, v76, v77, v48                              // 000000030410: D1D30030 04C29B4C
	v_max3_f32 v48, v78, v79, v48                              // 000000030418: D1D30030 04C29F4E
	v_mov_b32_e32 v64, 0xff800000                              // 000000030420: 7E8002FF FF800000
	v_cmp_eq_u32_e64 s[40:41], v64, v14                        // 000000030428: D0CA0028 00021D40
	s_nop 1                                                    // 000000030430: BF800001
	v_max_f32_e32 v15, v48, v14                                // 000000030434: 161E1D30
	v_mul_f32_e32 v53, s64, v15                                // 000000030438: 0A6A1E40
	v_fma_f32 v160, v160, s64, -v53                            // 00000003043C: D1CB00A0 84D481A0
	v_fma_f32 v161, v161, s64, -v53                            // 000000030444: D1CB00A1 84D481A1
	v_fma_f32 v162, v162, s64, -v53                            // 00000003044C: D1CB00A2 84D481A2
	v_fma_f32 v163, v163, s64, -v53                            // 000000030454: D1CB00A3 84D481A3
	v_fma_f32 v164, v164, s64, -v53                            // 00000003045C: D1CB00A4 84D481A4
	v_fma_f32 v165, v165, s64, -v53                            // 000000030464: D1CB00A5 84D481A5
	v_fma_f32 v166, v166, s64, -v53                            // 00000003046C: D1CB00A6 84D481A6
	v_fma_f32 v167, v167, s64, -v53                            // 000000030474: D1CB00A7 84D481A7
	v_fma_f32 v168, v168, s64, -v53                            // 00000003047C: D1CB00A8 84D481A8
	v_fma_f32 v169, v169, s64, -v53                            // 000000030484: D1CB00A9 84D481A9
	v_fma_f32 v170, v170, s64, -v53                            // 00000003048C: D1CB00AA 84D481AA
	v_fma_f32 v171, v171, s64, -v53                            // 000000030494: D1CB00AB 84D481AB
	v_fma_f32 v172, v172, s64, -v53                            // 00000003049C: D1CB00AC 84D481AC
	v_fma_f32 v173, v173, s64, -v53                            // 0000000304A4: D1CB00AD 84D481AD
	v_fma_f32 v174, v174, s64, -v53                            // 0000000304AC: D1CB00AE 84D481AE
	v_fma_f32 v175, v175, s64, -v53                            // 0000000304B4: D1CB00AF 84D481AF
	v_exp_f32_e32 v160, v160                                   // 0000000304BC: 7F4041A0
	v_exp_f32_e32 v161, v161                                   // 0000000304C0: 7F4241A1
	v_exp_f32_e32 v162, v162                                   // 0000000304C4: 7F4441A2
	v_exp_f32_e32 v163, v163                                   // 0000000304C8: 7F4641A3
	v_exp_f32_e32 v164, v164                                   // 0000000304CC: 7F4841A4
	v_exp_f32_e32 v165, v165                                   // 0000000304D0: 7F4A41A5
	v_exp_f32_e32 v166, v166                                   // 0000000304D4: 7F4C41A6
	v_exp_f32_e32 v167, v167                                   // 0000000304D8: 7F4E41A7
	v_exp_f32_e32 v168, v168                                   // 0000000304DC: 7F5041A8
	v_exp_f32_e32 v169, v169                                   // 0000000304E0: 7F5241A9
	v_exp_f32_e32 v170, v170                                   // 0000000304E4: 7F5441AA
	v_exp_f32_e32 v171, v171                                   // 0000000304E8: 7F5641AB
	v_exp_f32_e32 v172, v172                                   // 0000000304EC: 7F5841AC
	v_exp_f32_e32 v173, v173                                   // 0000000304F0: 7F5A41AD
	v_exp_f32_e32 v174, v174                                   // 0000000304F4: 7F5C41AE
	v_exp_f32_e32 v175, v175                                   // 0000000304F8: 7F5E41AF
	v_mul_f32_dpp v240, v252, v160 quad_perm:[0,0,0,0] row_mask:0xf bank_mask:0xf// 0000000304FC: 0BE140FA FF0000FC
	v_mul_f32_dpp v241, v252, v161 quad_perm:[1,1,1,1] row_mask:0xf bank_mask:0xf// 000000030504: 0BE342FA FF0055FC
	v_mul_f32_dpp v242, v252, v162 quad_perm:[2,2,2,2] row_mask:0xf bank_mask:0xf// 00000003050C: 0BE544FA FF00AAFC
	v_mul_f32_dpp v243, v252, v163 quad_perm:[3,3,3,3] row_mask:0xf bank_mask:0xf// 000000030514: 0BE746FA FF00FFFC
	v_mul_f32_dpp v244, v253, v164 quad_perm:[0,0,0,0] row_mask:0xf bank_mask:0xf// 00000003051C: 0BE948FA FF0000FD
	v_mul_f32_dpp v245, v253, v165 quad_perm:[1,1,1,1] row_mask:0xf bank_mask:0xf// 000000030524: 0BEB4AFA FF0055FD
	v_mul_f32_dpp v246, v253, v166 quad_perm:[2,2,2,2] row_mask:0xf bank_mask:0xf// 00000003052C: 0BED4CFA FF00AAFD
	v_mul_f32_dpp v247, v253, v167 quad_perm:[3,3,3,3] row_mask:0xf bank_mask:0xf// 000000030534: 0BEF4EFA FF00FFFD
	v_mul_f32_dpp v248, v254, v168 quad_perm:[0,0,0,0] row_mask:0xf bank_mask:0xf// 00000003053C: 0BF150FA FF0000FE
	v_mul_f32_dpp v249, v254, v169 quad_perm:[1,1,1,1] row_mask:0xf bank_mask:0xf// 000000030544: 0BF352FA FF0055FE
	v_mul_f32_dpp v250, v254, v170 quad_perm:[2,2,2,2] row_mask:0xf bank_mask:0xf// 00000003054C: 0BF554FA FF00AAFE
	v_mul_f32_dpp v251, v254, v171 quad_perm:[3,3,3,3] row_mask:0xf bank_mask:0xf// 000000030554: 0BF756FA FF00FFFE
	v_mul_f32_dpp v252, v255, v172 quad_perm:[0,0,0,0] row_mask:0xf bank_mask:0xf// 00000003055C: 0BF958FA FF0000FF
	v_mul_f32_dpp v253, v255, v173 quad_perm:[1,1,1,1] row_mask:0xf bank_mask:0xf// 000000030564: 0BFB5AFA FF0055FF
	v_mul_f32_dpp v254, v255, v174 quad_perm:[2,2,2,2] row_mask:0xf bank_mask:0xf// 00000003056C: 0BFD5CFA FF00AAFF
	v_mul_f32_dpp v255, v255, v175 quad_perm:[3,3,3,3] row_mask:0xf bank_mask:0xf// 000000030574: 0BFF5EFA FF00FFFF
	v_mov_b32_e32 v48, 0x358637bd                              // 00000003057C: 7E6002FF 358637BD
	v_max3_f32 v48, |v240|, |v241|, v48                        // 000000030584: D1D30330 04C3E3F0
	v_max3_f32 v48, |v242|, |v243|, v48                        // 00000003058C: D1D30330 04C3E7F2
	v_max3_f32 v48, |v244|, |v245|, v48                        // 000000030594: D1D30330 04C3EBF4
	v_max3_f32 v48, |v246|, |v247|, v48                        // 00000003059C: D1D30330 04C3EFF6
	v_max3_f32 v48, |v248|, |v249|, v48                        // 0000000305A4: D1D30330 04C3F3F8
	v_max3_f32 v48, |v250|, |v251|, v48                        // 0000000305AC: D1D30330 04C3F7FA
	v_max3_f32 v48, |v252|, |v253|, v48                        // 0000000305B4: D1D30330 04C3FBFC
	v_max3_f32 v48, |v254|, |v255|, v48                        // 0000000305BC: D1D30330 04C3FFFE
	ds_write_b32 v8, v48 offset:20992                          // 0000000305C4: D81A5200 00003008
	v_sub_f32_e32 v52, v14, v15                                // 0000000305CC: 04681F0E
	v_cndmask_b32_e64 v52, v52, 0, s[40:41]                    // 0000000305D0: D1000034 00A10134
	v_mov_b32_e32 v14, v15                                     // 0000000305D8: 7E1C030F
	v_mul_f32_e32 v52, s64, v52                                // 0000000305DC: 0A686840
	v_exp_f32_e32 v52, v52                                     // 0000000305E0: 7E684134
	s_waitcnt lgkmcnt(0)                                       // 0000000305E4: BF8CC07F
	s_barrier                                                  // 0000000305E8: BF8A0000
	ds_read_b32 v64, v7 offset:20992                           // 0000000305EC: D86C5200 40000007
	ds_read_b32 v65, v7 offset:21056                           // 0000000305F4: D86C5240 41000007
	ds_read_b32 v66, v7 offset:21120                           // 0000000305FC: D86C5280 42000007
	ds_read_b32 v67, v7 offset:21184                           // 000000030604: D86C52C0 43000007
	ds_read_b32 v68, v7 offset:21248                           // 00000003060C: D86C5300 44000007
	ds_read_b32 v69, v7 offset:21312                           // 000000030614: D86C5340 45000007
	ds_read_b32 v70, v7 offset:21376                           // 00000003061C: D86C5380 46000007
	ds_read_b32 v71, v7 offset:21440                           // 000000030624: D86C53C0 47000007
	ds_read_b32 v72, v7 offset:21504                           // 00000003062C: D86C5400 48000007
	ds_read_b32 v73, v7 offset:21568                           // 000000030634: D86C5440 49000007
	ds_read_b32 v74, v7 offset:21632                           // 00000003063C: D86C5480 4A000007
	ds_read_b32 v75, v7 offset:21696                           // 000000030644: D86C54C0 4B000007
	ds_read_b32 v76, v7 offset:21760                           // 00000003064C: D86C5500 4C000007
	ds_read_b32 v77, v7 offset:21824                           // 000000030654: D86C5540 4D000007
	ds_read_b32 v78, v7 offset:21888                           // 00000003065C: D86C5580 4E000007
	ds_read_b32 v79, v7 offset:21952                           // 000000030664: D86C55C0 4F000007
	v_mul_f32_e32 v41, v52, v41                                // 00000003066C: 0A525334
	v_mov_b32_e32 v15, v160                                    // 000000030670: 7E1E03A0
	v_add_f32_e32 v15, v161, v15                               // 000000030674: 021E1FA1
	v_add_f32_e32 v15, v162, v15                               // 000000030678: 021E1FA2
	v_add_f32_e32 v15, v163, v15                               // 00000003067C: 021E1FA3
	v_add_f32_e32 v15, v164, v15                               // 000000030680: 021E1FA4
	v_add_f32_e32 v15, v165, v15                               // 000000030684: 021E1FA5
	v_add_f32_e32 v15, v166, v15                               // 000000030688: 021E1FA6
	v_add_f32_e32 v15, v167, v15                               // 00000003068C: 021E1FA7
	v_add_f32_e32 v15, v168, v15                               // 000000030690: 021E1FA8
	v_add_f32_e32 v15, v169, v15                               // 000000030694: 021E1FA9
	v_add_f32_e32 v15, v170, v15                               // 000000030698: 021E1FAA
	v_add_f32_e32 v15, v171, v15                               // 00000003069C: 021E1FAB
	v_add_f32_e32 v15, v172, v15                               // 0000000306A0: 021E1FAC
	v_add_f32_e32 v15, v173, v15                               // 0000000306A4: 021E1FAD
	v_add_f32_e32 v15, v174, v15                               // 0000000306A8: 021E1FAE
	v_add_f32_e32 v15, v175, v15                               // 0000000306AC: 021E1FAF
	v_add_f32_e32 v41, v15, v41                                // 0000000306B0: 0252530F
	s_waitcnt lgkmcnt(0)                                       // 0000000306B4: BF8CC07F
	v_max3_f32 v48, |v64|, |v65|, v48                          // 0000000306B8: D1D30330 04C28340
	v_max3_f32 v48, |v66|, |v67|, v48                          // 0000000306C0: D1D30330 04C28742
	v_max3_f32 v48, |v68|, |v69|, v48                          // 0000000306C8: D1D30330 04C28B44
	v_max3_f32 v48, |v70|, |v71|, v48                          // 0000000306D0: D1D30330 04C28F46
	v_max3_f32 v48, |v72|, |v73|, v48                          // 0000000306D8: D1D30330 04C29348
	v_max3_f32 v48, |v74|, |v75|, v48                          // 0000000306E0: D1D30330 04C2974A
	v_max3_f32 v48, |v76|, |v77|, v48                          // 0000000306E8: D1D30330 04C29B4C
	v_max3_f32 v48, |v78|, |v79|, v48                          // 0000000306F0: D1D30330 04C29F4E
	s_nop 2                                                    // 0000000306F8: BF800002
	v_rcp_f32_e32 v48, v48                                     // 0000000306FC: 7E604530
	s_nop 1                                                    // 000000030700: BF800001
	v_mul_f32_e32 v48, 0x42fe0000, v48                         // 000000030704: 0A6060FF 42FE0000
	v_mul_f32_e32 v160, v48, v240                              // 00000003070C: 0B41E130
	v_mul_f32_e32 v161, v48, v241                              // 000000030710: 0B43E330
	v_mul_f32_e32 v162, v48, v242                              // 000000030714: 0B45E530
	v_mul_f32_e32 v163, v48, v243                              // 000000030718: 0B47E730
	v_mul_f32_e32 v164, v48, v244                              // 00000003071C: 0B49E930
	v_mul_f32_e32 v165, v48, v245                              // 000000030720: 0B4BEB30
	v_mul_f32_e32 v166, v48, v246                              // 000000030724: 0B4DED30
	v_mul_f32_e32 v167, v48, v247                              // 000000030728: 0B4FEF30
	v_mul_f32_e32 v168, v48, v248                              // 00000003072C: 0B51F130
	v_mul_f32_e32 v169, v48, v249                              // 000000030730: 0B53F330
	v_mul_f32_e32 v170, v48, v250                              // 000000030734: 0B55F530
	v_mul_f32_e32 v171, v48, v251                              // 000000030738: 0B57F730
	v_mul_f32_e32 v172, v48, v252                              // 00000003073C: 0B59F930
	v_mul_f32_e32 v173, v48, v253                              // 000000030740: 0B5BFB30
	v_mul_f32_e32 v174, v48, v254                              // 000000030744: 0B5DFD30
	v_mul_f32_e32 v175, v48, v255                              // 000000030748: 0B5FFF30
	v_cvt_i32_f32_e32 v160, v160                               // 00000003074C: 7F4011A0
	v_cvt_i32_f32_e32 v161, v161                               // 000000030750: 7F4211A1
	v_cvt_i32_f32_e32 v162, v162                               // 000000030754: 7F4411A2
	v_cvt_i32_f32_e32 v163, v163                               // 000000030758: 7F4611A3
	v_cvt_i32_f32_e32 v164, v164                               // 00000003075C: 7F4811A4
	v_cvt_i32_f32_e32 v165, v165                               // 000000030760: 7F4A11A5
	v_cvt_i32_f32_e32 v166, v166                               // 000000030764: 7F4C11A6
	v_cvt_i32_f32_e32 v167, v167                               // 000000030768: 7F4E11A7
	v_cvt_i32_f32_e32 v168, v168                               // 00000003076C: 7F5011A8
	v_cvt_i32_f32_e32 v169, v169                               // 000000030770: 7F5211A9
	v_cvt_i32_f32_e32 v170, v170                               // 000000030774: 7F5411AA
	v_cvt_i32_f32_e32 v171, v171                               // 000000030778: 7F5611AB
	v_cvt_i32_f32_e32 v172, v172                               // 00000003077C: 7F5811AC
	v_cvt_i32_f32_e32 v173, v173                               // 000000030780: 7F5A11AD
	v_cvt_i32_f32_e32 v174, v174                               // 000000030784: 7F5C11AE
	v_cvt_i32_f32_e32 v175, v175                               // 000000030788: 7F5E11AF
	v_perm_b32 v160, v161, v160, s53                           // 00000003078C: D1ED00A0 00D741A1
	v_perm_b32 v160, v162, v160, s54                           // 000000030794: D1ED00A0 00DB41A2
	v_perm_b32 v160, v163, v160, s55                           // 00000003079C: D1ED00A0 00DF41A3
	v_perm_b32 v161, v165, v164, s53                           // 0000000307A4: D1ED00A1 00D749A5
	v_perm_b32 v161, v166, v161, s54                           // 0000000307AC: D1ED00A1 00DB43A6
	v_perm_b32 v161, v167, v161, s55                           // 0000000307B4: D1ED00A1 00DF43A7
	v_perm_b32 v162, v169, v168, s53                           // 0000000307BC: D1ED00A2 00D751A9
	v_perm_b32 v162, v170, v162, s54                           // 0000000307C4: D1ED00A2 00DB45AA
	v_perm_b32 v162, v171, v162, s55                           // 0000000307CC: D1ED00A2 00DF45AB
	v_perm_b32 v163, v173, v172, s53                           // 0000000307D4: D1ED00A3 00D759AD
	v_perm_b32 v163, v174, v163, s54                           // 0000000307DC: D1ED00A3 00DB47AE
	v_perm_b32 v163, v175, v163, s55                           // 0000000307E4: D1ED00A3 00DF47AF
	ds_write_b32 v10, v160 offset:37376                        // 0000000307EC: D81A9200 0000A00A
	ds_write_b32 v10, v161 offset:38400                        // 0000000307F4: D81A9600 0000A10A
	ds_write_b32 v10, v162 offset:39424                        // 0000000307FC: D81A9A00 0000A20A
	ds_write_b32 v10, v163 offset:40448                        // 000000030804: D81A9E00 0000A30A
	v_add_f32_e32 v232, v232, v200                             // 00000003080C: 03D191E8
	v_add_f32_e32 v233, v233, v201                             // 000000030810: 03D393E9
	v_add_f32_e32 v234, v234, v202                             // 000000030814: 03D595EA
	v_add_f32_e32 v235, v235, v203                             // 000000030818: 03D797EB
	v_add_f32_e32 v236, v236, v204                             // 00000003081C: 03D999EC
	v_add_f32_e32 v237, v237, v205                             // 000000030820: 03DB9BED
	v_add_f32_e32 v238, v238, v206                             // 000000030824: 03DD9DEE
	v_add_f32_e32 v239, v239, v207                             // 000000030828: 03DF9FEF
	v_rcp_f32_e32 v47, v48                                     // 00000003082C: 7E5E4530
	s_waitcnt lgkmcnt(0)                                       // 000000030830: BF8CC07F
	s_barrier                                                  // 000000030834: BF8A0000
	ds_read_b64 v[160:161], v9 offset:37376                    // 000000030838: D8EC9200 A0000009
	ds_read_b64 v[162:163], v9 offset:37504                    // 000000030840: D8EC9280 A2000009
	ds_read_b64 v[164:165], v9 offset:38400                    // 000000030848: D8EC9600 A4000009
	ds_read_b64 v[166:167], v9 offset:38528                    // 000000030850: D8EC9680 A6000009
	ds_read_b64 v[168:169], v9 offset:39424                    // 000000030858: D8EC9A00 A8000009
	ds_read_b64 v[170:171], v9 offset:39552                    // 000000030860: D8EC9A80 AA000009
	ds_read_b64 v[172:173], v9 offset:40448                    // 000000030868: D8EC9E00 AC000009
	ds_read_b64 v[174:175], v9 offset:40576                    // 000000030870: D8EC9E80 AE000009
	s_waitcnt vmcnt(0)                                         // 000000030878: BF8C0F70
	s_barrier                                                  // 00000003087C: BF8A0000
	v_mfma_i32_16x16x32_i8 v[176:179], a[96:97], v[112:113], 0 // 000000030880: D3D700B0 0A02E160
	v_mfma_i32_16x16x32_i8 v[176:179], a[98:99], v[114:115], v[176:179]// 000000030888: D3D700B0 0EC2E562
	v_mfma_i32_16x16x32_i8 v[176:179], a[100:101], v[116:117], v[176:179]// 000000030890: D3D700B0 0EC2E964
	v_mfma_i32_16x16x32_i8 v[176:179], a[102:103], v[118:119], v[176:179]// 000000030898: D3D700B0 0EC2ED66
	v_mfma_i32_16x16x32_i8 v[176:179], a[104:105], v[120:121], v[176:179]// 0000000308A0: D3D700B0 0EC2F168
	v_mfma_i32_16x16x32_i8 v[176:179], a[106:107], v[122:123], v[176:179]// 0000000308A8: D3D700B0 0EC2F56A
	v_mfma_i32_16x16x32_i8 v[176:179], a[108:109], v[124:125], v[176:179]// 0000000308B0: D3D700B0 0EC2F96C
	v_mfma_i32_16x16x32_i8 v[176:179], a[110:111], v[126:127], v[176:179]// 0000000308B8: D3D700B0 0EC2FD6E
	v_mfma_i32_16x16x32_i8 v[180:183], a[112:113], v[112:113], 0// 0000000308C0: D3D700B4 0A02E170
	v_mfma_i32_16x16x32_i8 v[180:183], a[114:115], v[114:115], v[180:183]// 0000000308C8: D3D700B4 0ED2E572
	v_mfma_i32_16x16x32_i8 v[180:183], a[116:117], v[116:117], v[180:183]// 0000000308D0: D3D700B4 0ED2E974
	v_mfma_i32_16x16x32_i8 v[180:183], a[118:119], v[118:119], v[180:183]// 0000000308D8: D3D700B4 0ED2ED76
	v_mfma_i32_16x16x32_i8 v[180:183], a[120:121], v[120:121], v[180:183]// 0000000308E0: D3D700B4 0ED2F178
	v_mfma_i32_16x16x32_i8 v[180:183], a[122:123], v[122:123], v[180:183]// 0000000308E8: D3D700B4 0ED2F57A
	v_mfma_i32_16x16x32_i8 v[180:183], a[124:125], v[124:125], v[180:183]// 0000000308F0: D3D700B4 0ED2F97C
	v_mfma_i32_16x16x32_i8 v[180:183], a[126:127], v[126:127], v[180:183]// 0000000308F8: D3D700B4 0ED2FD7E
	v_mfma_i32_16x16x32_i8 v[184:187], a[96:97], v[128:129], 0 // 000000030900: D3D700B8 0A030160
	v_mfma_i32_16x16x32_i8 v[184:187], a[98:99], v[130:131], v[184:187]// 000000030908: D3D700B8 0EE30562
	v_mfma_i32_16x16x32_i8 v[184:187], a[100:101], v[132:133], v[184:187]// 000000030910: D3D700B8 0EE30964
	v_mfma_i32_16x16x32_i8 v[184:187], a[102:103], v[134:135], v[184:187]// 000000030918: D3D700B8 0EE30D66
	v_mfma_i32_16x16x32_i8 v[184:187], a[104:105], v[136:137], v[184:187]// 000000030920: D3D700B8 0EE31168
	v_mfma_i32_16x16x32_i8 v[184:187], a[106:107], v[138:139], v[184:187]// 000000030928: D3D700B8 0EE3156A
	v_mfma_i32_16x16x32_i8 v[184:187], a[108:109], v[140:141], v[184:187]// 000000030930: D3D700B8 0EE3196C
	v_mfma_i32_16x16x32_i8 v[184:187], a[110:111], v[142:143], v[184:187]// 000000030938: D3D700B8 0EE31D6E
	v_mfma_i32_16x16x32_i8 v[188:191], a[112:113], v[128:129], 0// 000000030940: D3D700BC 0A030170
	v_mfma_i32_16x16x32_i8 v[188:191], a[114:115], v[130:131], v[188:191]// 000000030948: D3D700BC 0EF30572
	v_mfma_i32_16x16x32_i8 v[188:191], a[116:117], v[132:133], v[188:191]// 000000030950: D3D700BC 0EF30974
	v_mfma_i32_16x16x32_i8 v[188:191], a[118:119], v[134:135], v[188:191]// 000000030958: D3D700BC 0EF30D76
	v_mfma_i32_16x16x32_i8 v[188:191], a[120:121], v[136:137], v[188:191]// 000000030960: D3D700BC 0EF31178
	v_mfma_i32_16x16x32_i8 v[188:191], a[122:123], v[138:139], v[188:191]// 000000030968: D3D700BC 0EF3157A
	v_mfma_i32_16x16x32_i8 v[188:191], a[124:125], v[140:141], v[188:191]// 000000030970: D3D700BC 0EF3197C
	v_mfma_i32_16x16x32_i8 v[188:191], a[126:127], v[142:143], v[188:191]// 000000030978: D3D700BC 0EF31D7E
	v_mfma_i32_16x16x32_i8 v[192:195], a[96:97], v[144:145], 0 // 000000030980: D3D700C0 0A032160
	v_mfma_i32_16x16x32_i8 v[192:195], a[98:99], v[146:147], v[192:195]// 000000030988: D3D700C0 0F032562
	v_mfma_i32_16x16x32_i8 v[192:195], a[100:101], v[148:149], v[192:195]// 000000030990: D3D700C0 0F032964
	v_mfma_i32_16x16x32_i8 v[192:195], a[102:103], v[150:151], v[192:195]// 000000030998: D3D700C0 0F032D66
	v_mfma_i32_16x16x32_i8 v[192:195], a[104:105], v[152:153], v[192:195]// 0000000309A0: D3D700C0 0F033168
	v_mfma_i32_16x16x32_i8 v[192:195], a[106:107], v[154:155], v[192:195]// 0000000309A8: D3D700C0 0F03356A
	v_mfma_i32_16x16x32_i8 v[192:195], a[108:109], v[156:157], v[192:195]// 0000000309B0: D3D700C0 0F03396C
	v_mfma_i32_16x16x32_i8 v[192:195], a[110:111], v[158:159], v[192:195]// 0000000309B8: D3D700C0 0F033D6E
	v_mfma_i32_16x16x32_i8 v[196:199], a[112:113], v[144:145], 0// 0000000309C0: D3D700C4 0A032170
	v_mfma_i32_16x16x32_i8 v[196:199], a[114:115], v[146:147], v[196:199]// 0000000309C8: D3D700C4 0F132572
	v_mfma_i32_16x16x32_i8 v[196:199], a[116:117], v[148:149], v[196:199]// 0000000309D0: D3D700C4 0F132974
	v_mfma_i32_16x16x32_i8 v[196:199], a[118:119], v[150:151], v[196:199]// 0000000309D8: D3D700C4 0F132D76
	v_mfma_i32_16x16x32_i8 v[196:199], a[120:121], v[152:153], v[196:199]// 0000000309E0: D3D700C4 0F133178
	v_mfma_i32_16x16x32_i8 v[196:199], a[122:123], v[154:155], v[196:199]// 0000000309E8: D3D700C4 0F13357A
	v_mfma_i32_16x16x32_i8 v[196:199], a[124:125], v[156:157], v[196:199]// 0000000309F0: D3D700C4 0F13397C
	v_mfma_i32_16x16x32_i8 v[196:199], a[126:127], v[158:159], v[196:199]// 0000000309F8: D3D700C4 0F133D7E
	v_mfma_i32_16x16x32_i8 v[200:203], a[96:97], v[160:161], 0 // 000000030A00: D3D700C8 0A034160
	v_mfma_i32_16x16x32_i8 v[200:203], a[98:99], v[162:163], v[200:203]// 000000030A08: D3D700C8 0F234562
	v_mfma_i32_16x16x32_i8 v[200:203], a[100:101], v[164:165], v[200:203]// 000000030A10: D3D700C8 0F234964
	v_mfma_i32_16x16x32_i8 v[200:203], a[102:103], v[166:167], v[200:203]// 000000030A18: D3D700C8 0F234D66
	v_mfma_i32_16x16x32_i8 v[200:203], a[104:105], v[168:169], v[200:203]// 000000030A20: D3D700C8 0F235168
	v_mfma_i32_16x16x32_i8 v[200:203], a[106:107], v[170:171], v[200:203]// 000000030A28: D3D700C8 0F23556A
	v_mfma_i32_16x16x32_i8 v[200:203], a[108:109], v[172:173], v[200:203]// 000000030A30: D3D700C8 0F23596C
	v_mfma_i32_16x16x32_i8 v[200:203], a[110:111], v[174:175], v[200:203]// 000000030A38: D3D700C8 0F235D6E
	v_mfma_i32_16x16x32_i8 v[204:207], a[112:113], v[160:161], 0// 000000030A40: D3D700CC 0A034170
	v_mfma_i32_16x16x32_i8 v[204:207], a[114:115], v[162:163], v[204:207]// 000000030A48: D3D700CC 0F334572
	v_mfma_i32_16x16x32_i8 v[204:207], a[116:117], v[164:165], v[204:207]// 000000030A50: D3D700CC 0F334974
	v_mfma_i32_16x16x32_i8 v[204:207], a[118:119], v[166:167], v[204:207]// 000000030A58: D3D700CC 0F334D76
	v_mfma_i32_16x16x32_i8 v[204:207], a[120:121], v[168:169], v[204:207]// 000000030A60: D3D700CC 0F335178
	v_mfma_i32_16x16x32_i8 v[204:207], a[122:123], v[170:171], v[204:207]// 000000030A68: D3D700CC 0F33557A
	v_mfma_i32_16x16x32_i8 v[204:207], a[124:125], v[172:173], v[204:207]// 000000030A70: D3D700CC 0F33597C
	v_mfma_i32_16x16x32_i8 v[204:207], a[126:127], v[174:175], v[204:207]// 000000030A78: D3D700CC 0F335D7E
	s_nop 4                                                    // 000000030A80: BF800004
	s_branch label_BA22                                        // 000000030A84: BF820000

0000000000030a88 <label_BA22>:
	v_mul_f32_e32 v208, v49, v208                              // 000000030A88: 0BA1A131
	v_mul_f32_e32 v209, v49, v209                              // 000000030A8C: 0BA3A331
	v_mul_f32_e32 v210, v49, v210                              // 000000030A90: 0BA5A531
	v_mul_f32_e32 v211, v49, v211                              // 000000030A94: 0BA7A731
	v_mul_f32_e32 v212, v49, v212                              // 000000030A98: 0BA9A931
	v_mul_f32_e32 v213, v49, v213                              // 000000030A9C: 0BABAB31
	v_mul_f32_e32 v214, v49, v214                              // 000000030AA0: 0BADAD31
	v_mul_f32_e32 v215, v49, v215                              // 000000030AA4: 0BAFAF31
	v_cvt_f32_i32_e32 v176, v176                               // 000000030AA8: 7F600BB0
	v_cvt_f32_i32_e32 v177, v177                               // 000000030AAC: 7F620BB1
	v_cvt_f32_i32_e32 v178, v178                               // 000000030AB0: 7F640BB2
	v_cvt_f32_i32_e32 v179, v179                               // 000000030AB4: 7F660BB3
	v_cvt_f32_i32_e32 v180, v180                               // 000000030AB8: 7F680BB4
	v_cvt_f32_i32_e32 v181, v181                               // 000000030ABC: 7F6A0BB5
	v_cvt_f32_i32_e32 v182, v182                               // 000000030AC0: 7F6C0BB6
	v_cvt_f32_i32_e32 v183, v183                               // 000000030AC4: 7F6E0BB7
	v_mul_f32_e32 v176, v44, v176                              // 000000030AC8: 0B61612C
	v_mul_f32_e32 v177, v44, v177                              // 000000030ACC: 0B63632C
	v_mul_f32_e32 v178, v44, v178                              // 000000030AD0: 0B65652C
	v_mul_f32_e32 v179, v44, v179                              // 000000030AD4: 0B67672C
	v_mul_f32_e32 v180, v44, v180                              // 000000030AD8: 0B69692C
	v_mul_f32_e32 v181, v44, v181                              // 000000030ADC: 0B6B6B2C
	v_mul_f32_e32 v182, v44, v182                              // 000000030AE0: 0B6D6D2C
	v_mul_f32_e32 v183, v44, v183                              // 000000030AE4: 0B6F6F2C
	v_add_f32_e32 v208, v208, v176                             // 000000030AE8: 03A161D0
	v_add_f32_e32 v209, v209, v177                             // 000000030AEC: 03A363D1
	v_add_f32_e32 v210, v210, v178                             // 000000030AF0: 03A565D2
	v_add_f32_e32 v211, v211, v179                             // 000000030AF4: 03A767D3
	v_add_f32_e32 v212, v212, v180                             // 000000030AF8: 03A969D4
	v_add_f32_e32 v213, v213, v181                             // 000000030AFC: 03AB6BD5
	v_add_f32_e32 v214, v214, v182                             // 000000030B00: 03AD6DD6
	v_add_f32_e32 v215, v215, v183                             // 000000030B04: 03AF6FD7
	ds_write_b32 v8, v38 offset:16896                          // 000000030B08: D81A4200 00002608
	s_waitcnt lgkmcnt(0)                                       // 000000030B10: BF8CC07F
	s_barrier                                                  // 000000030B14: BF8A0000
	ds_read_b32 v64, v7 offset:16896                           // 000000030B18: D86C4200 40000007
	ds_read_b32 v65, v7 offset:16960                           // 000000030B20: D86C4240 41000007
	ds_read_b32 v66, v7 offset:17024                           // 000000030B28: D86C4280 42000007
	ds_read_b32 v67, v7 offset:17088                           // 000000030B30: D86C42C0 43000007
	ds_read_b32 v68, v7 offset:17152                           // 000000030B38: D86C4300 44000007
	ds_read_b32 v69, v7 offset:17216                           // 000000030B40: D86C4340 45000007
	ds_read_b32 v70, v7 offset:17280                           // 000000030B48: D86C4380 46000007
	ds_read_b32 v71, v7 offset:17344                           // 000000030B50: D86C43C0 47000007
	ds_read_b32 v72, v7 offset:17408                           // 000000030B58: D86C4400 48000007
	ds_read_b32 v73, v7 offset:17472                           // 000000030B60: D86C4440 49000007
	ds_read_b32 v74, v7 offset:17536                           // 000000030B68: D86C4480 4A000007
	ds_read_b32 v75, v7 offset:17600                           // 000000030B70: D86C44C0 4B000007
	ds_read_b32 v76, v7 offset:17664                           // 000000030B78: D86C4500 4C000007
	ds_read_b32 v77, v7 offset:17728                           // 000000030B80: D86C4540 4D000007
	ds_read_b32 v78, v7 offset:17792                           // 000000030B88: D86C4580 4E000007
	ds_read_b32 v79, v7 offset:17856                           // 000000030B90: D86C45C0 4F000007
	s_waitcnt lgkmcnt(0)                                       // 000000030B98: BF8CC07F
	v_mov_b32_e32 v38, 0                                       // 000000030B9C: 7E4C0280
	v_add_f32_e32 v38, v64, v38                                // 000000030BA0: 024C4D40
	v_add_f32_e32 v38, v65, v38                                // 000000030BA4: 024C4D41
	v_add_f32_e32 v38, v66, v38                                // 000000030BA8: 024C4D42
	v_add_f32_e32 v38, v67, v38                                // 000000030BAC: 024C4D43
	v_add_f32_e32 v38, v68, v38                                // 000000030BB0: 024C4D44
	v_add_f32_e32 v38, v69, v38                                // 000000030BB4: 024C4D45
	v_add_f32_e32 v38, v70, v38                                // 000000030BB8: 024C4D46
	v_add_f32_e32 v38, v71, v38                                // 000000030BBC: 024C4D47
	v_add_f32_e32 v38, v72, v38                                // 000000030BC0: 024C4D48
	v_add_f32_e32 v38, v73, v38                                // 000000030BC4: 024C4D49
	v_add_f32_e32 v38, v74, v38                                // 000000030BC8: 024C4D4A
	v_add_f32_e32 v38, v75, v38                                // 000000030BCC: 024C4D4B
	v_add_f32_e32 v38, v76, v38                                // 000000030BD0: 024C4D4C
	v_add_f32_e32 v38, v77, v38                                // 000000030BD4: 024C4D4D
	v_add_f32_e32 v38, v78, v38                                // 000000030BD8: 024C4D4E
	v_add_f32_e32 v38, v79, v38                                // 000000030BDC: 024C4D4F
	s_nop 1                                                    // 000000030BE0: BF800001
	v_rcp_f32_e32 v38, v38                                     // 000000030BE4: 7E4C4526
	s_nop 1                                                    // 000000030BE8: BF800001
	v_mul_f32_e32 v208, v38, v208                              // 000000030BEC: 0BA1A126
	v_mul_f32_e32 v209, v38, v209                              // 000000030BF0: 0BA3A326
	v_mul_f32_e32 v210, v38, v210                              // 000000030BF4: 0BA5A526
	v_mul_f32_e32 v211, v38, v211                              // 000000030BF8: 0BA7A726
	v_mul_f32_e32 v212, v38, v212                              // 000000030BFC: 0BA9A926
	v_mul_f32_e32 v213, v38, v213                              // 000000030C00: 0BABAB26
	v_mul_f32_e32 v214, v38, v214                              // 000000030C04: 0BADAD26
	v_mul_f32_e32 v215, v38, v215                              // 000000030C08: 0BAFAF26
	v_mov_b32_e32 v19, 0xffff0000                              // 000000030C0C: 7E2602FF FFFF0000
	v_mov_b32_e32 v20, 0x7fff0000                              // 000000030C14: 7E2802FF 7FFF0000
	v_mov_b32_e32 v21, 0x7fff                                  // 000000030C1C: 7E2A02FF 00007FFF
	v_cmp_u_f32_e64 s[40:41], v208, v208                       // 000000030C24: D0480028 0003A1D0
	v_add3_u32 v18, v208, v21, 1                               // 000000030C2C: D1FF0012 02062BD0
	v_cndmask_b32_e64 v64, v18, v20, s[40:41]                  // 000000030C34: D1000040 00A22912
	v_cmp_u_f32_e64 s[40:41], v209, v209                       // 000000030C3C: D0480028 0003A3D1
	v_add3_u32 v18, v209, v21, 1                               // 000000030C44: D1FF0012 02062BD1
	v_cndmask_b32_e64 v65, v18, v20, s[40:41]                  // 000000030C4C: D1000041 00A22912
	v_perm_b32 v208, v65, v64, s52                             // 000000030C54: D1ED00D0 00D28141
	v_cmp_u_f32_e64 s[40:41], v210, v210                       // 000000030C5C: D0480028 0003A5D2
	v_add3_u32 v18, v210, v21, 1                               // 000000030C64: D1FF0012 02062BD2
	v_cndmask_b32_e64 v64, v18, v20, s[40:41]                  // 000000030C6C: D1000040 00A22912
	v_cmp_u_f32_e64 s[40:41], v211, v211                       // 000000030C74: D0480028 0003A7D3
	v_add3_u32 v18, v211, v21, 1                               // 000000030C7C: D1FF0012 02062BD3
	v_cndmask_b32_e64 v65, v18, v20, s[40:41]                  // 000000030C84: D1000041 00A22912
	v_perm_b32 v209, v65, v64, s52                             // 000000030C8C: D1ED00D1 00D28141
	v_cmp_u_f32_e64 s[40:41], v212, v212                       // 000000030C94: D0480028 0003A9D4
	v_add3_u32 v18, v212, v21, 1                               // 000000030C9C: D1FF0012 02062BD4
	v_cndmask_b32_e64 v64, v18, v20, s[40:41]                  // 000000030CA4: D1000040 00A22912
	v_cmp_u_f32_e64 s[40:41], v213, v213                       // 000000030CAC: D0480028 0003ABD5
	v_add3_u32 v18, v213, v21, 1                               // 000000030CB4: D1FF0012 02062BD5
	v_cndmask_b32_e64 v65, v18, v20, s[40:41]                  // 000000030CBC: D1000041 00A22912
	v_perm_b32 v210, v65, v64, s52                             // 000000030CC4: D1ED00D2 00D28141
	v_cmp_u_f32_e64 s[40:41], v214, v214                       // 000000030CCC: D0480028 0003ADD6
	v_add3_u32 v18, v214, v21, 1                               // 000000030CD4: D1FF0012 02062BD6
	v_cndmask_b32_e64 v64, v18, v20, s[40:41]                  // 000000030CDC: D1000040 00A22912
	v_cmp_u_f32_e64 s[40:41], v215, v215                       // 000000030CE4: D0480028 0003AFD7
	v_add3_u32 v18, v215, v21, 1                               // 000000030CEC: D1FF0012 02062BD7
	v_cndmask_b32_e64 v65, v18, v20, s[40:41]                  // 000000030CF4: D1000041 00A22912
	v_perm_b32 v211, v65, v64, s52                             // 000000030CFC: D1ED00D3 00D28141
	s_nop 1                                                    // 000000030D04: BF800001
	v_lshrrev_b32_e32 v64, 4, v0                               // 000000030D08: 20800084
	v_mul_i32_i24_e32 v68, 34, v64                             // 000000030D0C: 0C8880A2
	v_and_b32_e32 v64, 15, v0                                  // 000000030D10: 2680008F
	v_mul_i32_i24_e32 v65, 2, v64                              // 000000030D14: 0C828082
	v_add_u32_e32 v68, v65, v68                                // 000000030D18: 68888941
	s_mul_i32 s60, s7, 0x88                                    // 000000030D1C: 923CFF07 00000088
	v_add_u32_e32 v68, s60, v68                                // 000000030D24: 6888883C
	v_lshlrev_b32_e32 v68, 2, v68                              // 000000030D28: 24888882
	ds_write_b64 v68, v[208:209] offset:41472                  // 000000030D2C: D89AA200 0000D044
	ds_write_b64 v68, v[210:211] offset:43648                  // 000000030D34: D89AAA80 0000D244
	v_lshrrev_b32_e32 v64, 1, v0                               // 000000030D3C: 20800081
	v_mul_i32_i24_e32 v68, 34, v64                             // 000000030D40: 0C8880A2
	v_and_b32_e32 v65, 1, v0                                   // 000000030D44: 26820081
	v_add_u32_e32 v68, v65, v68                                // 000000030D48: 68888941
	s_mul_i32 s60, s7, 2                                       // 000000030D4C: 923C8207
	v_add_u32_e32 v68, s60, v68                                // 000000030D50: 6888883C
	v_lshlrev_b32_e32 v68, 2, v68                              // 000000030D54: 24888882
	s_waitcnt lgkmcnt(0)                                       // 000000030D58: BF8CC07F
	s_barrier                                                  // 000000030D5C: BF8A0000
	ds_read_b32 v208, v68 offset:41472                         // 000000030D60: D86CA200 D0000044
	ds_read_b32 v209, v68 offset:41504                         // 000000030D68: D86CA220 D1000044
	ds_read_b32 v210, v68 offset:41536                         // 000000030D70: D86CA240 D2000044
	ds_read_b32 v211, v68 offset:41568                         // 000000030D78: D86CA260 D3000044
	s_mul_i32 s60, s7, 0x100                                   // 000000030D80: 923CFF07 00000100
	v_lshlrev_b32_e32 v64, 2, v0                               // 000000030D88: 24800082
	v_add_u32_e64 v64, v64, s60                                // 000000030D8C: D1340040 00007940
	s_waitcnt lgkmcnt(0)                                       // 000000030D94: BF8CC07F
	buffer_store_dword v208, v64, s[8:11], 0 offen             // 000000030D98: E0701000 8002D040
	buffer_store_dword v209, v64, s[8:11], 0 offen offset:1024 // 000000030DA0: E0701400 8002D140
	buffer_store_dword v210, v64, s[8:11], 0 offen offset:2048 // 000000030DA8: E0701800 8002D240
	buffer_store_dword v211, v64, s[8:11], 0 offen offset:3072 // 000000030DB0: E0701C00 8002D340
	s_add_u32 s8, s75, s8                                      // 000000030DB8: 8008084B
	s_addc_u32 s9, 0, s9                                       // 000000030DBC: 82090980
	v_mul_f32_e32 v216, v50, v216                              // 000000030DC0: 0BB1B132
	v_mul_f32_e32 v217, v50, v217                              // 000000030DC4: 0BB3B332
	v_mul_f32_e32 v218, v50, v218                              // 000000030DC8: 0BB5B532
	v_mul_f32_e32 v219, v50, v219                              // 000000030DCC: 0BB7B732
	v_mul_f32_e32 v220, v50, v220                              // 000000030DD0: 0BB9B932
	v_mul_f32_e32 v221, v50, v221                              // 000000030DD4: 0BBBBB32
	v_mul_f32_e32 v222, v50, v222                              // 000000030DD8: 0BBDBD32
	v_mul_f32_e32 v223, v50, v223                              // 000000030DDC: 0BBFBF32
	v_cvt_f32_i32_e32 v184, v184                               // 000000030DE0: 7F700BB8
	v_cvt_f32_i32_e32 v185, v185                               // 000000030DE4: 7F720BB9
	v_cvt_f32_i32_e32 v186, v186                               // 000000030DE8: 7F740BBA
	v_cvt_f32_i32_e32 v187, v187                               // 000000030DEC: 7F760BBB
	v_cvt_f32_i32_e32 v188, v188                               // 000000030DF0: 7F780BBC
	v_cvt_f32_i32_e32 v189, v189                               // 000000030DF4: 7F7A0BBD
	v_cvt_f32_i32_e32 v190, v190                               // 000000030DF8: 7F7C0BBE
	v_cvt_f32_i32_e32 v191, v191                               // 000000030DFC: 7F7E0BBF
	v_mul_f32_e32 v184, v45, v184                              // 000000030E00: 0B71712D
	v_mul_f32_e32 v185, v45, v185                              // 000000030E04: 0B73732D
	v_mul_f32_e32 v186, v45, v186                              // 000000030E08: 0B75752D
	v_mul_f32_e32 v187, v45, v187                              // 000000030E0C: 0B77772D
	v_mul_f32_e32 v188, v45, v188                              // 000000030E10: 0B79792D
	v_mul_f32_e32 v189, v45, v189                              // 000000030E14: 0B7B7B2D
	v_mul_f32_e32 v190, v45, v190                              // 000000030E18: 0B7D7D2D
	v_mul_f32_e32 v191, v45, v191                              // 000000030E1C: 0B7F7F2D
	v_add_f32_e32 v216, v216, v184                             // 000000030E20: 03B171D8
	v_add_f32_e32 v217, v217, v185                             // 000000030E24: 03B373D9
	v_add_f32_e32 v218, v218, v186                             // 000000030E28: 03B575DA
	v_add_f32_e32 v219, v219, v187                             // 000000030E2C: 03B777DB
	v_add_f32_e32 v220, v220, v188                             // 000000030E30: 03B979DC
	v_add_f32_e32 v221, v221, v189                             // 000000030E34: 03BB7BDD
	v_add_f32_e32 v222, v222, v190                             // 000000030E38: 03BD7DDE
	v_add_f32_e32 v223, v223, v191                             // 000000030E3C: 03BF7FDF
	ds_write_b32 v8, v39 offset:16896                          // 000000030E40: D81A4200 00002708
	s_waitcnt lgkmcnt(0)                                       // 000000030E48: BF8CC07F
	s_barrier                                                  // 000000030E4C: BF8A0000
	ds_read_b32 v64, v7 offset:16896                           // 000000030E50: D86C4200 40000007
	ds_read_b32 v65, v7 offset:16960                           // 000000030E58: D86C4240 41000007
	ds_read_b32 v66, v7 offset:17024                           // 000000030E60: D86C4280 42000007
	ds_read_b32 v67, v7 offset:17088                           // 000000030E68: D86C42C0 43000007
	ds_read_b32 v68, v7 offset:17152                           // 000000030E70: D86C4300 44000007
	ds_read_b32 v69, v7 offset:17216                           // 000000030E78: D86C4340 45000007
	ds_read_b32 v70, v7 offset:17280                           // 000000030E80: D86C4380 46000007
	ds_read_b32 v71, v7 offset:17344                           // 000000030E88: D86C43C0 47000007
	ds_read_b32 v72, v7 offset:17408                           // 000000030E90: D86C4400 48000007
	ds_read_b32 v73, v7 offset:17472                           // 000000030E98: D86C4440 49000007
	ds_read_b32 v74, v7 offset:17536                           // 000000030EA0: D86C4480 4A000007
	ds_read_b32 v75, v7 offset:17600                           // 000000030EA8: D86C44C0 4B000007
	ds_read_b32 v76, v7 offset:17664                           // 000000030EB0: D86C4500 4C000007
	ds_read_b32 v77, v7 offset:17728                           // 000000030EB8: D86C4540 4D000007
	ds_read_b32 v78, v7 offset:17792                           // 000000030EC0: D86C4580 4E000007
	ds_read_b32 v79, v7 offset:17856                           // 000000030EC8: D86C45C0 4F000007
	s_waitcnt lgkmcnt(0)                                       // 000000030ED0: BF8CC07F
	v_mov_b32_e32 v39, 0                                       // 000000030ED4: 7E4E0280
	v_add_f32_e32 v39, v64, v39                                // 000000030ED8: 024E4F40
	v_add_f32_e32 v39, v65, v39                                // 000000030EDC: 024E4F41
	v_add_f32_e32 v39, v66, v39                                // 000000030EE0: 024E4F42
	v_add_f32_e32 v39, v67, v39                                // 000000030EE4: 024E4F43
	v_add_f32_e32 v39, v68, v39                                // 000000030EE8: 024E4F44
	v_add_f32_e32 v39, v69, v39                                // 000000030EEC: 024E4F45
	v_add_f32_e32 v39, v70, v39                                // 000000030EF0: 024E4F46
	v_add_f32_e32 v39, v71, v39                                // 000000030EF4: 024E4F47
	v_add_f32_e32 v39, v72, v39                                // 000000030EF8: 024E4F48
	v_add_f32_e32 v39, v73, v39                                // 000000030EFC: 024E4F49
	v_add_f32_e32 v39, v74, v39                                // 000000030F00: 024E4F4A
	v_add_f32_e32 v39, v75, v39                                // 000000030F04: 024E4F4B
	v_add_f32_e32 v39, v76, v39                                // 000000030F08: 024E4F4C
	v_add_f32_e32 v39, v77, v39                                // 000000030F0C: 024E4F4D
	v_add_f32_e32 v39, v78, v39                                // 000000030F10: 024E4F4E
	v_add_f32_e32 v39, v79, v39                                // 000000030F14: 024E4F4F
	s_nop 1                                                    // 000000030F18: BF800001
	v_rcp_f32_e32 v39, v39                                     // 000000030F1C: 7E4E4527
	s_nop 1                                                    // 000000030F20: BF800001
	v_mul_f32_e32 v216, v39, v216                              // 000000030F24: 0BB1B127
	v_mul_f32_e32 v217, v39, v217                              // 000000030F28: 0BB3B327
	v_mul_f32_e32 v218, v39, v218                              // 000000030F2C: 0BB5B527
	v_mul_f32_e32 v219, v39, v219                              // 000000030F30: 0BB7B727
	v_mul_f32_e32 v220, v39, v220                              // 000000030F34: 0BB9B927
	v_mul_f32_e32 v221, v39, v221                              // 000000030F38: 0BBBBB27
	v_mul_f32_e32 v222, v39, v222                              // 000000030F3C: 0BBDBD27
	v_mul_f32_e32 v223, v39, v223                              // 000000030F40: 0BBFBF27
	v_mov_b32_e32 v19, 0xffff0000                              // 000000030F44: 7E2602FF FFFF0000
	v_mov_b32_e32 v20, 0x7fff0000                              // 000000030F4C: 7E2802FF 7FFF0000
	v_mov_b32_e32 v21, 0x7fff                                  // 000000030F54: 7E2A02FF 00007FFF
	v_cmp_u_f32_e64 s[40:41], v216, v216                       // 000000030F5C: D0480028 0003B1D8
	v_add3_u32 v18, v216, v21, 1                               // 000000030F64: D1FF0012 02062BD8
	v_cndmask_b32_e64 v64, v18, v20, s[40:41]                  // 000000030F6C: D1000040 00A22912
	v_cmp_u_f32_e64 s[40:41], v217, v217                       // 000000030F74: D0480028 0003B3D9
	v_add3_u32 v18, v217, v21, 1                               // 000000030F7C: D1FF0012 02062BD9
	v_cndmask_b32_e64 v65, v18, v20, s[40:41]                  // 000000030F84: D1000041 00A22912
	v_perm_b32 v216, v65, v64, s52                             // 000000030F8C: D1ED00D8 00D28141
	v_cmp_u_f32_e64 s[40:41], v218, v218                       // 000000030F94: D0480028 0003B5DA
	v_add3_u32 v18, v218, v21, 1                               // 000000030F9C: D1FF0012 02062BDA
	v_cndmask_b32_e64 v64, v18, v20, s[40:41]                  // 000000030FA4: D1000040 00A22912
	v_cmp_u_f32_e64 s[40:41], v219, v219                       // 000000030FAC: D0480028 0003B7DB
	v_add3_u32 v18, v219, v21, 1                               // 000000030FB4: D1FF0012 02062BDB
	v_cndmask_b32_e64 v65, v18, v20, s[40:41]                  // 000000030FBC: D1000041 00A22912
	v_perm_b32 v217, v65, v64, s52                             // 000000030FC4: D1ED00D9 00D28141
	v_cmp_u_f32_e64 s[40:41], v220, v220                       // 000000030FCC: D0480028 0003B9DC
	v_add3_u32 v18, v220, v21, 1                               // 000000030FD4: D1FF0012 02062BDC
	v_cndmask_b32_e64 v64, v18, v20, s[40:41]                  // 000000030FDC: D1000040 00A22912
	v_cmp_u_f32_e64 s[40:41], v221, v221                       // 000000030FE4: D0480028 0003BBDD
	v_add3_u32 v18, v221, v21, 1                               // 000000030FEC: D1FF0012 02062BDD
	v_cndmask_b32_e64 v65, v18, v20, s[40:41]                  // 000000030FF4: D1000041 00A22912
	v_perm_b32 v218, v65, v64, s52                             // 000000030FFC: D1ED00DA 00D28141
	v_cmp_u_f32_e64 s[40:41], v222, v222                       // 000000031004: D0480028 0003BDDE
	v_add3_u32 v18, v222, v21, 1                               // 00000003100C: D1FF0012 02062BDE
	v_cndmask_b32_e64 v64, v18, v20, s[40:41]                  // 000000031014: D1000040 00A22912
	v_cmp_u_f32_e64 s[40:41], v223, v223                       // 00000003101C: D0480028 0003BFDF
	v_add3_u32 v18, v223, v21, 1                               // 000000031024: D1FF0012 02062BDF
	v_cndmask_b32_e64 v65, v18, v20, s[40:41]                  // 00000003102C: D1000041 00A22912
	v_perm_b32 v219, v65, v64, s52                             // 000000031034: D1ED00DB 00D28141
	s_nop 1                                                    // 00000003103C: BF800001
	v_lshrrev_b32_e32 v64, 4, v0                               // 000000031040: 20800084
	v_mul_i32_i24_e32 v68, 34, v64                             // 000000031044: 0C8880A2
	v_and_b32_e32 v64, 15, v0                                  // 000000031048: 2680008F
	v_mul_i32_i24_e32 v65, 2, v64                              // 00000003104C: 0C828082
	v_add_u32_e32 v68, v65, v68                                // 000000031050: 68888941
	s_mul_i32 s60, s7, 0x88                                    // 000000031054: 923CFF07 00000088
	v_add_u32_e32 v68, s60, v68                                // 00000003105C: 6888883C
	v_lshlrev_b32_e32 v68, 2, v68                              // 000000031060: 24888882
	ds_write_b64 v68, v[216:217] offset:41472                  // 000000031064: D89AA200 0000D844
	ds_write_b64 v68, v[218:219] offset:43648                  // 00000003106C: D89AAA80 0000DA44
	v_lshrrev_b32_e32 v64, 1, v0                               // 000000031074: 20800081
	v_mul_i32_i24_e32 v68, 34, v64                             // 000000031078: 0C8880A2
	v_and_b32_e32 v65, 1, v0                                   // 00000003107C: 26820081
	v_add_u32_e32 v68, v65, v68                                // 000000031080: 68888941
	s_mul_i32 s60, s7, 2                                       // 000000031084: 923C8207
	v_add_u32_e32 v68, s60, v68                                // 000000031088: 6888883C
	v_lshlrev_b32_e32 v68, 2, v68                              // 00000003108C: 24888882
	s_waitcnt lgkmcnt(0)                                       // 000000031090: BF8CC07F
	s_barrier                                                  // 000000031094: BF8A0000
	ds_read_b32 v216, v68 offset:41472                         // 000000031098: D86CA200 D8000044
	ds_read_b32 v217, v68 offset:41504                         // 0000000310A0: D86CA220 D9000044
	ds_read_b32 v218, v68 offset:41536                         // 0000000310A8: D86CA240 DA000044
	ds_read_b32 v219, v68 offset:41568                         // 0000000310B0: D86CA260 DB000044
	s_mul_i32 s60, s7, 0x100                                   // 0000000310B8: 923CFF07 00000100
	v_lshlrev_b32_e32 v64, 2, v0                               // 0000000310C0: 24800082
	v_add_u32_e64 v64, v64, s60                                // 0000000310C4: D1340040 00007940
	s_waitcnt lgkmcnt(0)                                       // 0000000310CC: BF8CC07F
	buffer_store_dword v216, v64, s[8:11], 0 offen             // 0000000310D0: E0701000 8002D840
	buffer_store_dword v217, v64, s[8:11], 0 offen offset:1024 // 0000000310D8: E0701400 8002D940
	buffer_store_dword v218, v64, s[8:11], 0 offen offset:2048 // 0000000310E0: E0701800 8002DA40
	buffer_store_dword v219, v64, s[8:11], 0 offen offset:3072 // 0000000310E8: E0701C00 8002DB40
	s_add_u32 s8, s75, s8                                      // 0000000310F0: 8008084B
	s_addc_u32 s9, 0, s9                                       // 0000000310F4: 82090980
	v_mul_f32_e32 v224, v51, v224                              // 0000000310F8: 0BC1C133
	v_mul_f32_e32 v225, v51, v225                              // 0000000310FC: 0BC3C333
	v_mul_f32_e32 v226, v51, v226                              // 000000031100: 0BC5C533
	v_mul_f32_e32 v227, v51, v227                              // 000000031104: 0BC7C733
	v_mul_f32_e32 v228, v51, v228                              // 000000031108: 0BC9C933
	v_mul_f32_e32 v229, v51, v229                              // 00000003110C: 0BCBCB33
	v_mul_f32_e32 v230, v51, v230                              // 000000031110: 0BCDCD33
	v_mul_f32_e32 v231, v51, v231                              // 000000031114: 0BCFCF33
	v_cvt_f32_i32_e32 v192, v192                               // 000000031118: 7F800BC0
	v_cvt_f32_i32_e32 v193, v193                               // 00000003111C: 7F820BC1
	v_cvt_f32_i32_e32 v194, v194                               // 000000031120: 7F840BC2
	v_cvt_f32_i32_e32 v195, v195                               // 000000031124: 7F860BC3
	v_cvt_f32_i32_e32 v196, v196                               // 000000031128: 7F880BC4
	v_cvt_f32_i32_e32 v197, v197                               // 00000003112C: 7F8A0BC5
	v_cvt_f32_i32_e32 v198, v198                               // 000000031130: 7F8C0BC6
	v_cvt_f32_i32_e32 v199, v199                               // 000000031134: 7F8E0BC7
	v_mul_f32_e32 v192, v46, v192                              // 000000031138: 0B81812E
	v_mul_f32_e32 v193, v46, v193                              // 00000003113C: 0B83832E
	v_mul_f32_e32 v194, v46, v194                              // 000000031140: 0B85852E
	v_mul_f32_e32 v195, v46, v195                              // 000000031144: 0B87872E
	v_mul_f32_e32 v196, v46, v196                              // 000000031148: 0B89892E
	v_mul_f32_e32 v197, v46, v197                              // 00000003114C: 0B8B8B2E
	v_mul_f32_e32 v198, v46, v198                              // 000000031150: 0B8D8D2E
	v_mul_f32_e32 v199, v46, v199                              // 000000031154: 0B8F8F2E
	v_add_f32_e32 v224, v224, v192                             // 000000031158: 03C181E0
	v_add_f32_e32 v225, v225, v193                             // 00000003115C: 03C383E1
	v_add_f32_e32 v226, v226, v194                             // 000000031160: 03C585E2
	v_add_f32_e32 v227, v227, v195                             // 000000031164: 03C787E3
	v_add_f32_e32 v228, v228, v196                             // 000000031168: 03C989E4
	v_add_f32_e32 v229, v229, v197                             // 00000003116C: 03CB8BE5
	v_add_f32_e32 v230, v230, v198                             // 000000031170: 03CD8DE6
	v_add_f32_e32 v231, v231, v199                             // 000000031174: 03CF8FE7
	ds_write_b32 v8, v40 offset:16896                          // 000000031178: D81A4200 00002808
	s_waitcnt lgkmcnt(0)                                       // 000000031180: BF8CC07F
	s_barrier                                                  // 000000031184: BF8A0000
	ds_read_b32 v64, v7 offset:16896                           // 000000031188: D86C4200 40000007
	ds_read_b32 v65, v7 offset:16960                           // 000000031190: D86C4240 41000007
	ds_read_b32 v66, v7 offset:17024                           // 000000031198: D86C4280 42000007
	ds_read_b32 v67, v7 offset:17088                           // 0000000311A0: D86C42C0 43000007
	ds_read_b32 v68, v7 offset:17152                           // 0000000311A8: D86C4300 44000007
	ds_read_b32 v69, v7 offset:17216                           // 0000000311B0: D86C4340 45000007
	ds_read_b32 v70, v7 offset:17280                           // 0000000311B8: D86C4380 46000007
	ds_read_b32 v71, v7 offset:17344                           // 0000000311C0: D86C43C0 47000007
	ds_read_b32 v72, v7 offset:17408                           // 0000000311C8: D86C4400 48000007
	ds_read_b32 v73, v7 offset:17472                           // 0000000311D0: D86C4440 49000007
	ds_read_b32 v74, v7 offset:17536                           // 0000000311D8: D86C4480 4A000007
	ds_read_b32 v75, v7 offset:17600                           // 0000000311E0: D86C44C0 4B000007
	ds_read_b32 v76, v7 offset:17664                           // 0000000311E8: D86C4500 4C000007
	ds_read_b32 v77, v7 offset:17728                           // 0000000311F0: D86C4540 4D000007
	ds_read_b32 v78, v7 offset:17792                           // 0000000311F8: D86C4580 4E000007
	ds_read_b32 v79, v7 offset:17856                           // 000000031200: D86C45C0 4F000007
	s_waitcnt lgkmcnt(0)                                       // 000000031208: BF8CC07F
	v_mov_b32_e32 v40, 0                                       // 00000003120C: 7E500280
	v_add_f32_e32 v40, v64, v40                                // 000000031210: 02505140
	v_add_f32_e32 v40, v65, v40                                // 000000031214: 02505141
	v_add_f32_e32 v40, v66, v40                                // 000000031218: 02505142
	v_add_f32_e32 v40, v67, v40                                // 00000003121C: 02505143
	v_add_f32_e32 v40, v68, v40                                // 000000031220: 02505144
	v_add_f32_e32 v40, v69, v40                                // 000000031224: 02505145
	;; [unrolled: 1-line block ×3, first 2 shown]
	v_add_f32_e32 v40, v71, v40                                // 00000003122C: 02505147
	v_add_f32_e32 v40, v72, v40                                // 000000031230: 02505148
	v_add_f32_e32 v40, v73, v40                                // 000000031234: 02505149
	v_add_f32_e32 v40, v74, v40                                // 000000031238: 0250514A
	v_add_f32_e32 v40, v75, v40                                // 00000003123C: 0250514B
	v_add_f32_e32 v40, v76, v40                                // 000000031240: 0250514C
	v_add_f32_e32 v40, v77, v40                                // 000000031244: 0250514D
	v_add_f32_e32 v40, v78, v40                                // 000000031248: 0250514E
	v_add_f32_e32 v40, v79, v40                                // 00000003124C: 0250514F
	s_nop 1                                                    // 000000031250: BF800001
	v_rcp_f32_e32 v40, v40                                     // 000000031254: 7E504528
	s_nop 1                                                    // 000000031258: BF800001
	v_mul_f32_e32 v224, v40, v224                              // 00000003125C: 0BC1C128
	v_mul_f32_e32 v225, v40, v225                              // 000000031260: 0BC3C328
	v_mul_f32_e32 v226, v40, v226                              // 000000031264: 0BC5C528
	v_mul_f32_e32 v227, v40, v227                              // 000000031268: 0BC7C728
	v_mul_f32_e32 v228, v40, v228                              // 00000003126C: 0BC9C928
	v_mul_f32_e32 v229, v40, v229                              // 000000031270: 0BCBCB28
	v_mul_f32_e32 v230, v40, v230                              // 000000031274: 0BCDCD28
	v_mul_f32_e32 v231, v40, v231                              // 000000031278: 0BCFCF28
	v_mov_b32_e32 v19, 0xffff0000                              // 00000003127C: 7E2602FF FFFF0000
	v_mov_b32_e32 v20, 0x7fff0000                              // 000000031284: 7E2802FF 7FFF0000
	v_mov_b32_e32 v21, 0x7fff                                  // 00000003128C: 7E2A02FF 00007FFF
	v_cmp_u_f32_e64 s[40:41], v224, v224                       // 000000031294: D0480028 0003C1E0
	v_add3_u32 v18, v224, v21, 1                               // 00000003129C: D1FF0012 02062BE0
	v_cndmask_b32_e64 v64, v18, v20, s[40:41]                  // 0000000312A4: D1000040 00A22912
	v_cmp_u_f32_e64 s[40:41], v225, v225                       // 0000000312AC: D0480028 0003C3E1
	v_add3_u32 v18, v225, v21, 1                               // 0000000312B4: D1FF0012 02062BE1
	v_cndmask_b32_e64 v65, v18, v20, s[40:41]                  // 0000000312BC: D1000041 00A22912
	v_perm_b32 v224, v65, v64, s52                             // 0000000312C4: D1ED00E0 00D28141
	v_cmp_u_f32_e64 s[40:41], v226, v226                       // 0000000312CC: D0480028 0003C5E2
	v_add3_u32 v18, v226, v21, 1                               // 0000000312D4: D1FF0012 02062BE2
	v_cndmask_b32_e64 v64, v18, v20, s[40:41]                  // 0000000312DC: D1000040 00A22912
	v_cmp_u_f32_e64 s[40:41], v227, v227                       // 0000000312E4: D0480028 0003C7E3
	v_add3_u32 v18, v227, v21, 1                               // 0000000312EC: D1FF0012 02062BE3
	v_cndmask_b32_e64 v65, v18, v20, s[40:41]                  // 0000000312F4: D1000041 00A22912
	v_perm_b32 v225, v65, v64, s52                             // 0000000312FC: D1ED00E1 00D28141
	v_cmp_u_f32_e64 s[40:41], v228, v228                       // 000000031304: D0480028 0003C9E4
	v_add3_u32 v18, v228, v21, 1                               // 00000003130C: D1FF0012 02062BE4
	v_cndmask_b32_e64 v64, v18, v20, s[40:41]                  // 000000031314: D1000040 00A22912
	v_cmp_u_f32_e64 s[40:41], v229, v229                       // 00000003131C: D0480028 0003CBE5
	v_add3_u32 v18, v229, v21, 1                               // 000000031324: D1FF0012 02062BE5
	v_cndmask_b32_e64 v65, v18, v20, s[40:41]                  // 00000003132C: D1000041 00A22912
	v_perm_b32 v226, v65, v64, s52                             // 000000031334: D1ED00E2 00D28141
	v_cmp_u_f32_e64 s[40:41], v230, v230                       // 00000003133C: D0480028 0003CDE6
	v_add3_u32 v18, v230, v21, 1                               // 000000031344: D1FF0012 02062BE6
	v_cndmask_b32_e64 v64, v18, v20, s[40:41]                  // 00000003134C: D1000040 00A22912
	v_cmp_u_f32_e64 s[40:41], v231, v231                       // 000000031354: D0480028 0003CFE7
	v_add3_u32 v18, v231, v21, 1                               // 00000003135C: D1FF0012 02062BE7
	v_cndmask_b32_e64 v65, v18, v20, s[40:41]                  // 000000031364: D1000041 00A22912
	v_perm_b32 v227, v65, v64, s52                             // 00000003136C: D1ED00E3 00D28141
	s_nop 1                                                    // 000000031374: BF800001
	v_lshrrev_b32_e32 v64, 4, v0                               // 000000031378: 20800084
	v_mul_i32_i24_e32 v68, 34, v64                             // 00000003137C: 0C8880A2
	v_and_b32_e32 v64, 15, v0                                  // 000000031380: 2680008F
	v_mul_i32_i24_e32 v65, 2, v64                              // 000000031384: 0C828082
	v_add_u32_e32 v68, v65, v68                                // 000000031388: 68888941
	s_mul_i32 s60, s7, 0x88                                    // 00000003138C: 923CFF07 00000088
	v_add_u32_e32 v68, s60, v68                                // 000000031394: 6888883C
	v_lshlrev_b32_e32 v68, 2, v68                              // 000000031398: 24888882
	ds_write_b64 v68, v[224:225] offset:41472                  // 00000003139C: D89AA200 0000E044
	ds_write_b64 v68, v[226:227] offset:43648                  // 0000000313A4: D89AAA80 0000E244
	v_lshrrev_b32_e32 v64, 1, v0                               // 0000000313AC: 20800081
	v_mul_i32_i24_e32 v68, 34, v64                             // 0000000313B0: 0C8880A2
	v_and_b32_e32 v65, 1, v0                                   // 0000000313B4: 26820081
	v_add_u32_e32 v68, v65, v68                                // 0000000313B8: 68888941
	s_mul_i32 s60, s7, 2                                       // 0000000313BC: 923C8207
	v_add_u32_e32 v68, s60, v68                                // 0000000313C0: 6888883C
	v_lshlrev_b32_e32 v68, 2, v68                              // 0000000313C4: 24888882
	s_waitcnt lgkmcnt(0)                                       // 0000000313C8: BF8CC07F
	s_barrier                                                  // 0000000313CC: BF8A0000
	ds_read_b32 v224, v68 offset:41472                         // 0000000313D0: D86CA200 E0000044
	ds_read_b32 v225, v68 offset:41504                         // 0000000313D8: D86CA220 E1000044
	ds_read_b32 v226, v68 offset:41536                         // 0000000313E0: D86CA240 E2000044
	ds_read_b32 v227, v68 offset:41568                         // 0000000313E8: D86CA260 E3000044
	s_mul_i32 s60, s7, 0x100                                   // 0000000313F0: 923CFF07 00000100
	v_lshlrev_b32_e32 v64, 2, v0                               // 0000000313F8: 24800082
	v_add_u32_e64 v64, v64, s60                                // 0000000313FC: D1340040 00007940
	s_waitcnt lgkmcnt(0)                                       // 000000031404: BF8CC07F
	buffer_store_dword v224, v64, s[8:11], 0 offen             // 000000031408: E0701000 8002E040
	buffer_store_dword v225, v64, s[8:11], 0 offen offset:1024 // 000000031410: E0701400 8002E140
	buffer_store_dword v226, v64, s[8:11], 0 offen offset:2048 // 000000031418: E0701800 8002E240
	buffer_store_dword v227, v64, s[8:11], 0 offen offset:3072 // 000000031420: E0701C00 8002E340
	s_add_u32 s8, s75, s8                                      // 000000031428: 8008084B
	s_addc_u32 s9, 0, s9                                       // 00000003142C: 82090980
	v_mul_f32_e32 v232, v52, v232                              // 000000031430: 0BD1D134
	v_mul_f32_e32 v233, v52, v233                              // 000000031434: 0BD3D334
	v_mul_f32_e32 v234, v52, v234                              // 000000031438: 0BD5D534
	v_mul_f32_e32 v235, v52, v235                              // 00000003143C: 0BD7D734
	v_mul_f32_e32 v236, v52, v236                              // 000000031440: 0BD9D934
	v_mul_f32_e32 v237, v52, v237                              // 000000031444: 0BDBDB34
	v_mul_f32_e32 v238, v52, v238                              // 000000031448: 0BDDDD34
	v_mul_f32_e32 v239, v52, v239                              // 00000003144C: 0BDFDF34
	v_cvt_f32_i32_e32 v200, v200                               // 000000031450: 7F900BC8
	v_cvt_f32_i32_e32 v201, v201                               // 000000031454: 7F920BC9
	v_cvt_f32_i32_e32 v202, v202                               // 000000031458: 7F940BCA
	v_cvt_f32_i32_e32 v203, v203                               // 00000003145C: 7F960BCB
	v_cvt_f32_i32_e32 v204, v204                               // 000000031460: 7F980BCC
	v_cvt_f32_i32_e32 v205, v205                               // 000000031464: 7F9A0BCD
	v_cvt_f32_i32_e32 v206, v206                               // 000000031468: 7F9C0BCE
	v_cvt_f32_i32_e32 v207, v207                               // 00000003146C: 7F9E0BCF
	v_mul_f32_e32 v200, v47, v200                              // 000000031470: 0B91912F
	v_mul_f32_e32 v201, v47, v201                              // 000000031474: 0B93932F
	v_mul_f32_e32 v202, v47, v202                              // 000000031478: 0B95952F
	v_mul_f32_e32 v203, v47, v203                              // 00000003147C: 0B97972F
	v_mul_f32_e32 v204, v47, v204                              // 000000031480: 0B99992F
	v_mul_f32_e32 v205, v47, v205                              // 000000031484: 0B9B9B2F
	v_mul_f32_e32 v206, v47, v206                              // 000000031488: 0B9D9D2F
	v_mul_f32_e32 v207, v47, v207                              // 00000003148C: 0B9F9F2F
	v_add_f32_e32 v232, v232, v200                             // 000000031490: 03D191E8
	v_add_f32_e32 v233, v233, v201                             // 000000031494: 03D393E9
	v_add_f32_e32 v234, v234, v202                             // 000000031498: 03D595EA
	v_add_f32_e32 v235, v235, v203                             // 00000003149C: 03D797EB
	v_add_f32_e32 v236, v236, v204                             // 0000000314A0: 03D999EC
	v_add_f32_e32 v237, v237, v205                             // 0000000314A4: 03DB9BED
	v_add_f32_e32 v238, v238, v206                             // 0000000314A8: 03DD9DEE
	v_add_f32_e32 v239, v239, v207                             // 0000000314AC: 03DF9FEF
	ds_write_b32 v8, v41 offset:16896                          // 0000000314B0: D81A4200 00002908
	s_waitcnt lgkmcnt(0)                                       // 0000000314B8: BF8CC07F
	s_barrier                                                  // 0000000314BC: BF8A0000
	ds_read_b32 v64, v7 offset:16896                           // 0000000314C0: D86C4200 40000007
	ds_read_b32 v65, v7 offset:16960                           // 0000000314C8: D86C4240 41000007
	ds_read_b32 v66, v7 offset:17024                           // 0000000314D0: D86C4280 42000007
	ds_read_b32 v67, v7 offset:17088                           // 0000000314D8: D86C42C0 43000007
	ds_read_b32 v68, v7 offset:17152                           // 0000000314E0: D86C4300 44000007
	ds_read_b32 v69, v7 offset:17216                           // 0000000314E8: D86C4340 45000007
	ds_read_b32 v70, v7 offset:17280                           // 0000000314F0: D86C4380 46000007
	ds_read_b32 v71, v7 offset:17344                           // 0000000314F8: D86C43C0 47000007
	ds_read_b32 v72, v7 offset:17408                           // 000000031500: D86C4400 48000007
	ds_read_b32 v73, v7 offset:17472                           // 000000031508: D86C4440 49000007
	ds_read_b32 v74, v7 offset:17536                           // 000000031510: D86C4480 4A000007
	ds_read_b32 v75, v7 offset:17600                           // 000000031518: D86C44C0 4B000007
	ds_read_b32 v76, v7 offset:17664                           // 000000031520: D86C4500 4C000007
	ds_read_b32 v77, v7 offset:17728                           // 000000031528: D86C4540 4D000007
	ds_read_b32 v78, v7 offset:17792                           // 000000031530: D86C4580 4E000007
	ds_read_b32 v79, v7 offset:17856                           // 000000031538: D86C45C0 4F000007
	s_waitcnt lgkmcnt(0)                                       // 000000031540: BF8CC07F
	v_mov_b32_e32 v41, 0                                       // 000000031544: 7E520280
	v_add_f32_e32 v41, v64, v41                                // 000000031548: 02525340
	v_add_f32_e32 v41, v65, v41                                // 00000003154C: 02525341
	v_add_f32_e32 v41, v66, v41                                // 000000031550: 02525342
	v_add_f32_e32 v41, v67, v41                                // 000000031554: 02525343
	;; [unrolled: 1-line block ×3, first 2 shown]
	v_add_f32_e32 v41, v69, v41                                // 00000003155C: 02525345
	v_add_f32_e32 v41, v70, v41                                // 000000031560: 02525346
	v_add_f32_e32 v41, v71, v41                                // 000000031564: 02525347
	;; [unrolled: 1-line block ×3, first 2 shown]
	v_add_f32_e32 v41, v73, v41                                // 00000003156C: 02525349
	v_add_f32_e32 v41, v74, v41                                // 000000031570: 0252534A
	v_add_f32_e32 v41, v75, v41                                // 000000031574: 0252534B
	v_add_f32_e32 v41, v76, v41                                // 000000031578: 0252534C
	v_add_f32_e32 v41, v77, v41                                // 00000003157C: 0252534D
	v_add_f32_e32 v41, v78, v41                                // 000000031580: 0252534E
	v_add_f32_e32 v41, v79, v41                                // 000000031584: 0252534F
	s_nop 1                                                    // 000000031588: BF800001
	v_rcp_f32_e32 v41, v41                                     // 00000003158C: 7E524529
	s_nop 1                                                    // 000000031590: BF800001
	v_mul_f32_e32 v232, v41, v232                              // 000000031594: 0BD1D129
	v_mul_f32_e32 v233, v41, v233                              // 000000031598: 0BD3D329
	v_mul_f32_e32 v234, v41, v234                              // 00000003159C: 0BD5D529
	v_mul_f32_e32 v235, v41, v235                              // 0000000315A0: 0BD7D729
	v_mul_f32_e32 v236, v41, v236                              // 0000000315A4: 0BD9D929
	v_mul_f32_e32 v237, v41, v237                              // 0000000315A8: 0BDBDB29
	v_mul_f32_e32 v238, v41, v238                              // 0000000315AC: 0BDDDD29
	v_mul_f32_e32 v239, v41, v239                              // 0000000315B0: 0BDFDF29
	v_mov_b32_e32 v19, 0xffff0000                              // 0000000315B4: 7E2602FF FFFF0000
	v_mov_b32_e32 v20, 0x7fff0000                              // 0000000315BC: 7E2802FF 7FFF0000
	v_mov_b32_e32 v21, 0x7fff                                  // 0000000315C4: 7E2A02FF 00007FFF
	v_cmp_u_f32_e64 s[40:41], v232, v232                       // 0000000315CC: D0480028 0003D1E8
	v_add3_u32 v18, v232, v21, 1                               // 0000000315D4: D1FF0012 02062BE8
	v_cndmask_b32_e64 v64, v18, v20, s[40:41]                  // 0000000315DC: D1000040 00A22912
	v_cmp_u_f32_e64 s[40:41], v233, v233                       // 0000000315E4: D0480028 0003D3E9
	v_add3_u32 v18, v233, v21, 1                               // 0000000315EC: D1FF0012 02062BE9
	v_cndmask_b32_e64 v65, v18, v20, s[40:41]                  // 0000000315F4: D1000041 00A22912
	v_perm_b32 v232, v65, v64, s52                             // 0000000315FC: D1ED00E8 00D28141
	v_cmp_u_f32_e64 s[40:41], v234, v234                       // 000000031604: D0480028 0003D5EA
	v_add3_u32 v18, v234, v21, 1                               // 00000003160C: D1FF0012 02062BEA
	v_cndmask_b32_e64 v64, v18, v20, s[40:41]                  // 000000031614: D1000040 00A22912
	v_cmp_u_f32_e64 s[40:41], v235, v235                       // 00000003161C: D0480028 0003D7EB
	v_add3_u32 v18, v235, v21, 1                               // 000000031624: D1FF0012 02062BEB
	v_cndmask_b32_e64 v65, v18, v20, s[40:41]                  // 00000003162C: D1000041 00A22912
	v_perm_b32 v233, v65, v64, s52                             // 000000031634: D1ED00E9 00D28141
	v_cmp_u_f32_e64 s[40:41], v236, v236                       // 00000003163C: D0480028 0003D9EC
	v_add3_u32 v18, v236, v21, 1                               // 000000031644: D1FF0012 02062BEC
	v_cndmask_b32_e64 v64, v18, v20, s[40:41]                  // 00000003164C: D1000040 00A22912
	v_cmp_u_f32_e64 s[40:41], v237, v237                       // 000000031654: D0480028 0003DBED
	v_add3_u32 v18, v237, v21, 1                               // 00000003165C: D1FF0012 02062BED
	v_cndmask_b32_e64 v65, v18, v20, s[40:41]                  // 000000031664: D1000041 00A22912
	v_perm_b32 v234, v65, v64, s52                             // 00000003166C: D1ED00EA 00D28141
	v_cmp_u_f32_e64 s[40:41], v238, v238                       // 000000031674: D0480028 0003DDEE
	v_add3_u32 v18, v238, v21, 1                               // 00000003167C: D1FF0012 02062BEE
	v_cndmask_b32_e64 v64, v18, v20, s[40:41]                  // 000000031684: D1000040 00A22912
	v_cmp_u_f32_e64 s[40:41], v239, v239                       // 00000003168C: D0480028 0003DFEF
	v_add3_u32 v18, v239, v21, 1                               // 000000031694: D1FF0012 02062BEF
	v_cndmask_b32_e64 v65, v18, v20, s[40:41]                  // 00000003169C: D1000041 00A22912
	v_perm_b32 v235, v65, v64, s52                             // 0000000316A4: D1ED00EB 00D28141
	s_nop 1                                                    // 0000000316AC: BF800001
	v_lshrrev_b32_e32 v64, 4, v0                               // 0000000316B0: 20800084
	v_mul_i32_i24_e32 v68, 34, v64                             // 0000000316B4: 0C8880A2
	v_and_b32_e32 v64, 15, v0                                  // 0000000316B8: 2680008F
	v_mul_i32_i24_e32 v65, 2, v64                              // 0000000316BC: 0C828082
	v_add_u32_e32 v68, v65, v68                                // 0000000316C0: 68888941
	s_mul_i32 s60, s7, 0x88                                    // 0000000316C4: 923CFF07 00000088
	v_add_u32_e32 v68, s60, v68                                // 0000000316CC: 6888883C
	v_lshlrev_b32_e32 v68, 2, v68                              // 0000000316D0: 24888882
	ds_write_b64 v68, v[232:233] offset:41472                  // 0000000316D4: D89AA200 0000E844
	ds_write_b64 v68, v[234:235] offset:43648                  // 0000000316DC: D89AAA80 0000EA44
	v_lshrrev_b32_e32 v64, 1, v0                               // 0000000316E4: 20800081
	v_mul_i32_i24_e32 v68, 34, v64                             // 0000000316E8: 0C8880A2
	v_and_b32_e32 v65, 1, v0                                   // 0000000316EC: 26820081
	v_add_u32_e32 v68, v65, v68                                // 0000000316F0: 68888941
	s_mul_i32 s60, s7, 2                                       // 0000000316F4: 923C8207
	v_add_u32_e32 v68, s60, v68                                // 0000000316F8: 6888883C
	v_lshlrev_b32_e32 v68, 2, v68                              // 0000000316FC: 24888882
	s_waitcnt lgkmcnt(0)                                       // 000000031700: BF8CC07F
	s_barrier                                                  // 000000031704: BF8A0000
	ds_read_b32 v232, v68 offset:41472                         // 000000031708: D86CA200 E8000044
	ds_read_b32 v233, v68 offset:41504                         // 000000031710: D86CA220 E9000044
	ds_read_b32 v234, v68 offset:41536                         // 000000031718: D86CA240 EA000044
	ds_read_b32 v235, v68 offset:41568                         // 000000031720: D86CA260 EB000044
	s_mul_i32 s60, s7, 0x100                                   // 000000031728: 923CFF07 00000100
	v_lshlrev_b32_e32 v64, 2, v0                               // 000000031730: 24800082
	v_add_u32_e64 v64, v64, s60                                // 000000031734: D1340040 00007940
	s_waitcnt lgkmcnt(0)                                       // 00000003173C: BF8CC07F
	buffer_store_dword v232, v64, s[8:11], 0 offen             // 000000031740: E0701000 8002E840
	buffer_store_dword v233, v64, s[8:11], 0 offen offset:1024 // 000000031748: E0701400 8002E940
	buffer_store_dword v234, v64, s[8:11], 0 offen offset:2048 // 000000031750: E0701800 8002EA40
	buffer_store_dword v235, v64, s[8:11], 0 offen offset:3072 // 000000031758: E0701C00 8002EB40
	s_add_u32 s8, s75, s8                                      // 000000031760: 8008084B
	s_addc_u32 s9, 0, s9                                       // 000000031764: 82090980
	s_branch label_BD5B                                        // 000000031768: BF820000

000000000003176c <label_BD5B>:
	s_waitcnt vmcnt(0) expcnt(0) lgkmcnt(0)                    // 00000003176C: BF8C0000
	s_endpgm                                                   // 000000031770: BF810000
